;; amdgpu-corpus repo=ROCm/rocSPARSE kind=compiled arch=gfx1030 opt=O3
	.amdgcn_target "amdgcn-amd-amdhsa--gfx1030"
	.amdhsa_code_object_version 6
	.section	.text._ZN9rocsparse31csrmmnn_row_split_shared_kernelILj256ELj8EfiifffEEvNS_24const_host_device_scalarIT1_EES3_bbbT3_S4_llPKT2_PKS4_PKT4_PKT5_llPT6_ll16rocsparse_order_21rocsparse_index_base_,"axG",@progbits,_ZN9rocsparse31csrmmnn_row_split_shared_kernelILj256ELj8EfiifffEEvNS_24const_host_device_scalarIT1_EES3_bbbT3_S4_llPKT2_PKS4_PKT4_PKT5_llPT6_ll16rocsparse_order_21rocsparse_index_base_,comdat
	.protected	_ZN9rocsparse31csrmmnn_row_split_shared_kernelILj256ELj8EfiifffEEvNS_24const_host_device_scalarIT1_EES3_bbbT3_S4_llPKT2_PKS4_PKT4_PKT5_llPT6_ll16rocsparse_order_21rocsparse_index_base_ ; -- Begin function _ZN9rocsparse31csrmmnn_row_split_shared_kernelILj256ELj8EfiifffEEvNS_24const_host_device_scalarIT1_EES3_bbbT3_S4_llPKT2_PKS4_PKT4_PKT5_llPT6_ll16rocsparse_order_21rocsparse_index_base_
	.globl	_ZN9rocsparse31csrmmnn_row_split_shared_kernelILj256ELj8EfiifffEEvNS_24const_host_device_scalarIT1_EES3_bbbT3_S4_llPKT2_PKS4_PKT4_PKT5_llPT6_ll16rocsparse_order_21rocsparse_index_base_
	.p2align	8
	.type	_ZN9rocsparse31csrmmnn_row_split_shared_kernelILj256ELj8EfiifffEEvNS_24const_host_device_scalarIT1_EES3_bbbT3_S4_llPKT2_PKS4_PKT4_PKT5_llPT6_ll16rocsparse_order_21rocsparse_index_base_,@function
_ZN9rocsparse31csrmmnn_row_split_shared_kernelILj256ELj8EfiifffEEvNS_24const_host_device_scalarIT1_EES3_bbbT3_S4_llPKT2_PKS4_PKT4_PKT5_llPT6_ll16rocsparse_order_21rocsparse_index_base_: ; @_ZN9rocsparse31csrmmnn_row_split_shared_kernelILj256ELj8EfiifffEEvNS_24const_host_device_scalarIT1_EES3_bbbT3_S4_llPKT2_PKS4_PKT4_PKT5_llPT6_ll16rocsparse_order_21rocsparse_index_base_
; %bb.0:
	s_load_dwordx8 s[36:43], s[4:5], 0x0
	s_waitcnt lgkmcnt(0)
	s_bitcmp1_b32 s40, 0
	s_cselect_b32 s0, -1, 0
	s_and_b32 vcc_lo, exec_lo, s0
	s_xor_b32 s0, s0, -1
	s_cbranch_vccnz .LBB0_2
; %bb.1:
	s_load_dword s36, s[36:37], 0x0
.LBB0_2:
	s_andn2_b32 vcc_lo, exec_lo, s0
	s_cbranch_vccnz .LBB0_4
; %bb.3:
	s_load_dword s38, s[38:39], 0x0
.LBB0_4:
	s_waitcnt lgkmcnt(0)
	v_cmp_eq_f32_e64 s0, s36, 0
	v_cmp_eq_f32_e64 s1, s38, 1.0
	s_and_b32 s0, s0, s1
	s_and_b32 vcc_lo, exec_lo, s0
	s_cbranch_vccnz .LBB0_21
; %bb.5:
	v_lshl_or_b32 v1, s6, 8, v0
	s_mov_b32 s0, exec_lo
	v_lshrrev_b32_e32 v6, 3, v1
	v_cmpx_gt_i32_e64 s41, v6
	s_cbranch_execz .LBB0_21
; %bb.6:
	s_load_dwordx16 s[12:27], s[4:5], 0x20
	s_ashr_i32 s6, s8, 31
	v_lshlrev_b32_e32 v5, 2, v6
	s_load_dwordx2 s[10:11], s[4:5], 0x78
	v_and_b32_e32 v7, 7, v0
	v_mov_b32_e32 v8, 0
	v_lshl_or_b32 v1, s7, 3, v7
	v_ashrrev_i32_e32 v2, 31, v1
	s_waitcnt lgkmcnt(0)
	s_mul_hi_u32 s0, s12, s8
	s_mul_i32 s1, s12, s6
	s_mul_i32 s2, s13, s8
	s_add_i32 s1, s0, s1
	s_mul_i32 s0, s12, s8
	s_add_i32 s1, s1, s2
	s_lshl_b64 s[0:1], s[0:1], 2
	s_add_u32 s0, s16, s0
	s_addc_u32 s1, s17, s1
	global_load_dwordx2 v[3:4], v5, s[0:1]
	s_mov_b32 s1, exec_lo
	s_waitcnt vmcnt(0)
	v_cmpx_lt_i32_e64 v3, v4
	s_cbranch_execz .LBB0_14
; %bb.7:
	v_mul_lo_u32 v8, s25, v1
	v_mul_lo_u32 v10, s24, v2
	v_mad_u64_u32 v[12:13], null, s24, v1, 0
	v_lshlrev_b32_e32 v0, 2, v0
	s_mul_i32 s0, s14, s6
	s_mul_hi_u32 s2, s14, s8
	v_lshlrev_b32_e32 v11, 2, v7
	s_add_i32 s7, s2, s0
	s_mul_i32 s0, s26, s6
	v_add3_u32 v13, v13, v10, v8
	s_mul_hi_u32 s2, s26, s8
	v_and_b32_e32 v0, 0x3e0, v0
	s_add_i32 s0, s2, s0
	s_mul_i32 s2, s27, s8
	v_lshlrev_b64 v[12:13], 2, v[12:13]
	s_add_i32 s3, s0, s2
	s_mul_i32 s2, s26, s8
	v_or_b32_e32 v9, 0x400, v0
	s_lshl_b64 s[2:3], s[2:3], 2
	v_subrev_nc_u32_e32 v4, s11, v4
	v_add_co_u32 v8, s0, s22, v12
	v_add_co_ci_u32_e64 v13, null, s23, v13, s0
	v_subrev_nc_u32_e32 v3, s11, v3
	v_add_co_u32 v12, s0, v8, s2
	v_or_b32_e32 v10, v0, v11
	v_or_b32_e32 v11, v9, v11
	v_add_co_ci_u32_e64 v13, null, s3, v13, s0
	v_mov_b32_e32 v8, 0
	s_mul_i32 s9, s15, s8
	s_mov_b32 s3, 0
	s_add_i32 s2, s7, s9
	s_mul_i32 s7, s14, s8
	v_cmp_gt_i32_e32 vcc_lo, s42, v1
	s_branch .LBB0_9
.LBB0_8:                                ;   in Loop: Header=BB0_9 Depth=1
	s_or_b32 exec_lo, exec_lo, s9
	v_add_nc_u32_e32 v3, 8, v3
	v_cmp_ge_i32_e64 s0, v3, v4
	s_or_b32 s3, s0, s3
	s_andn2_b32 exec_lo, exec_lo, s3
	s_cbranch_execz .LBB0_13
.LBB0_9:                                ; =>This Inner Loop Header: Depth=1
	v_add_nc_u32_e32 v14, v7, v3
	v_mov_b32_e32 v15, 0
	v_mov_b32_e32 v16, 0
	s_mov_b32 s9, exec_lo
	s_barrier
	buffer_gl0_inv
	v_cmpx_lt_i32_e64 v14, v4
	s_cbranch_execz .LBB0_11
; %bb.10:                               ;   in Loop: Header=BB0_9 Depth=1
	v_ashrrev_i32_e32 v15, 31, v14
	v_add_co_u32 v14, s0, s7, v14
	v_add_co_ci_u32_e64 v15, null, s2, v15, s0
	v_lshlrev_b64 v[14:15], 2, v[14:15]
	v_add_co_u32 v16, s0, s18, v14
	v_add_co_ci_u32_e64 v17, null, s19, v15, s0
	v_add_co_u32 v14, s0, s20, v14
	v_add_co_ci_u32_e64 v15, null, s21, v15, s0
	global_load_dword v17, v[16:17], off
	global_load_dword v16, v[14:15], off
	s_waitcnt vmcnt(1)
	v_subrev_nc_u32_e32 v15, s11, v17
.LBB0_11:                               ;   in Loop: Header=BB0_9 Depth=1
	s_or_b32 exec_lo, exec_lo, s9
	ds_write_b32 v10, v15
	s_waitcnt vmcnt(0)
	ds_write_b32 v11, v16
	s_waitcnt lgkmcnt(0)
	s_barrier
	buffer_gl0_inv
	s_and_saveexec_b32 s9, vcc_lo
	s_cbranch_execz .LBB0_8
; %bb.12:                               ;   in Loop: Header=BB0_9 Depth=1
	ds_read_b128 v[14:17], v0
	ds_read_b128 v[18:21], v0 offset:16
	s_waitcnt lgkmcnt(1)
	v_ashrrev_i32_e32 v23, 31, v14
	v_mov_b32_e32 v22, v14
	v_ashrrev_i32_e32 v25, 31, v15
	v_mov_b32_e32 v24, v15
	;; [unrolled: 2-line block ×3, first 2 shown]
	v_lshlrev_b64 v[22:23], 2, v[22:23]
	v_ashrrev_i32_e32 v27, 31, v17
	v_mov_b32_e32 v26, v17
	v_lshlrev_b64 v[24:25], 2, v[24:25]
	v_lshlrev_b64 v[14:15], 2, v[14:15]
	s_waitcnt lgkmcnt(0)
	v_ashrrev_i32_e32 v17, 31, v18
	v_add_co_u32 v22, s0, v12, v22
	v_lshlrev_b64 v[26:27], 2, v[26:27]
	v_add_co_ci_u32_e64 v23, null, v13, v23, s0
	v_add_co_u32 v24, s0, v12, v24
	v_add_co_ci_u32_e64 v25, null, v13, v25, s0
	v_add_co_u32 v14, s0, v12, v14
	;; [unrolled: 2-line block ×3, first 2 shown]
	v_mov_b32_e32 v16, v18
	v_add_co_ci_u32_e64 v27, null, v13, v27, s0
	v_ashrrev_i32_e32 v29, 31, v19
	v_mov_b32_e32 v28, v19
	s_clause 0x3
	global_load_dword v23, v[22:23], off
	global_load_dword v24, v[24:25], off
	;; [unrolled: 1-line block ×4, first 2 shown]
	v_lshlrev_b64 v[16:17], 2, v[16:17]
	v_ashrrev_i32_e32 v19, 31, v20
	v_mov_b32_e32 v18, v20
	v_lshlrev_b64 v[14:15], 2, v[28:29]
	v_ashrrev_i32_e32 v22, 31, v21
	v_add_co_u32 v16, s0, v12, v16
	v_add_co_ci_u32_e64 v17, null, v13, v17, s0
	v_add_co_u32 v14, s0, v12, v14
	v_add_co_ci_u32_e64 v15, null, v13, v15, s0
	v_lshlrev_b64 v[18:19], 2, v[18:19]
	s_clause 0x1
	global_load_dword v27, v[16:17], off
	global_load_dword v28, v[14:15], off
	v_lshlrev_b64 v[14:15], 2, v[21:22]
	v_add_co_u32 v16, s0, v12, v18
	v_add_co_ci_u32_e64 v17, null, v13, v19, s0
	v_add_co_u32 v14, s0, v12, v14
	v_add_co_ci_u32_e64 v15, null, v13, v15, s0
	s_clause 0x1
	global_load_dword v22, v[16:17], off
	global_load_dword v29, v[14:15], off
	ds_read_b128 v[14:17], v9
	ds_read_b128 v[18:21], v9 offset:16
	s_waitcnt vmcnt(7) lgkmcnt(1)
	v_fmac_f32_e32 v8, v14, v23
	s_waitcnt vmcnt(6)
	v_fmac_f32_e32 v8, v15, v24
	s_waitcnt vmcnt(5)
	;; [unrolled: 2-line block ×3, first 2 shown]
	v_fmac_f32_e32 v8, v17, v26
	s_waitcnt vmcnt(3) lgkmcnt(0)
	v_fmac_f32_e32 v8, v18, v27
	s_waitcnt vmcnt(2)
	v_fmac_f32_e32 v8, v19, v28
	s_waitcnt vmcnt(1)
	;; [unrolled: 2-line block ×3, first 2 shown]
	v_fmac_f32_e32 v8, v21, v29
	s_branch .LBB0_8
.LBB0_13:
	s_or_b32 exec_lo, exec_lo, s3
.LBB0_14:
	s_or_b32 exec_lo, exec_lo, s1
	v_cmp_gt_i32_e32 vcc_lo, s42, v1
	s_and_b32 exec_lo, exec_lo, vcc_lo
	s_cbranch_execz .LBB0_21
; %bb.15:
	s_clause 0x1
	s_load_dwordx2 s[12:13], s[4:5], 0x70
	s_load_dwordx4 s[0:3], s[4:5], 0x60
	v_cmp_neq_f32_e64 s4, s38, 0
	v_mul_f32_e32 v0, s36, v8
	s_cmp_lg_u32 s10, 1
	s_cselect_b32 s7, -1, 0
	s_and_b32 vcc_lo, exec_lo, s4
	s_waitcnt lgkmcnt(0)
	s_mul_i32 s9, s12, s6
	s_mul_hi_u32 s10, s12, s8
	s_mul_i32 s6, s13, s8
	s_mul_i32 s4, s12, s8
	s_cbranch_vccz .LBB0_22
; %bb.16:
	s_add_i32 s5, s10, s9
	s_and_b32 vcc_lo, exec_lo, s7
	s_add_i32 s5, s5, s6
	s_mov_b32 s8, -1
	s_cbranch_vccz .LBB0_18
; %bb.17:
	v_mad_u64_u32 v[3:4], null, s2, v6, 0
	s_lshl_b64 s[12:13], s[4:5], 2
	s_mov_b32 s8, 0
	v_mad_u64_u32 v[7:8], null, s3, v6, v[4:5]
	v_mov_b32_e32 v4, v7
	v_lshlrev_b64 v[7:8], 2, v[1:2]
	v_lshlrev_b64 v[3:4], 2, v[3:4]
	v_add_co_u32 v3, vcc_lo, s0, v3
	v_add_co_ci_u32_e64 v4, null, s1, v4, vcc_lo
	v_add_co_u32 v3, vcc_lo, v3, v7
	v_add_co_ci_u32_e64 v4, null, v4, v8, vcc_lo
	;; [unrolled: 2-line block ×3, first 2 shown]
	global_load_dword v7, v[3:4], off
	s_waitcnt vmcnt(0)
	v_fma_f32 v7, s38, v7, v0
	global_store_dword v[3:4], v7, off
.LBB0_18:
	s_andn2_b32 vcc_lo, exec_lo, s8
	s_cbranch_vccnz .LBB0_20
; %bb.19:
	v_mul_lo_u32 v7, s3, v1
	v_mul_lo_u32 v8, s2, v2
	v_mad_u64_u32 v[3:4], null, s2, v1, 0
	s_lshl_b64 s[12:13], s[4:5], 2
	v_add3_u32 v4, v4, v8, v7
	v_lshlrev_b64 v[3:4], 2, v[3:4]
	v_add_co_u32 v3, vcc_lo, s0, v3
	v_add_co_ci_u32_e64 v4, null, s1, v4, vcc_lo
	v_add_co_u32 v3, vcc_lo, v3, v5
	v_add_co_ci_u32_e64 v4, null, 0, v4, vcc_lo
	;; [unrolled: 2-line block ×3, first 2 shown]
	global_load_dword v7, v[3:4], off
	s_waitcnt vmcnt(0)
	v_fma_f32 v7, s38, v7, v0
	global_store_dword v[3:4], v7, off
.LBB0_20:
	s_cbranch_execz .LBB0_23
.LBB0_21:
	s_endpgm
.LBB0_22:
.LBB0_23:
	s_add_i32 s5, s10, s9
	s_and_b32 vcc_lo, exec_lo, s7
	s_add_i32 s5, s5, s6
	s_mov_b32 s6, -1
	s_cbranch_vccz .LBB0_25
; %bb.24:
	v_mad_u64_u32 v[3:4], null, s2, v6, 0
	s_lshl_b64 s[6:7], s[4:5], 2
	v_mad_u64_u32 v[6:7], null, s3, v6, v[4:5]
	v_mov_b32_e32 v4, v6
	v_lshlrev_b64 v[6:7], 2, v[1:2]
	v_lshlrev_b64 v[3:4], 2, v[3:4]
	v_add_co_u32 v3, vcc_lo, s0, v3
	v_add_co_ci_u32_e64 v4, null, s1, v4, vcc_lo
	v_add_co_u32 v3, vcc_lo, v3, v6
	v_add_co_ci_u32_e64 v4, null, v4, v7, vcc_lo
	;; [unrolled: 2-line block ×3, first 2 shown]
	s_mov_b32 s6, 0
	global_store_dword v[3:4], v0, off
.LBB0_25:
	s_andn2_b32 vcc_lo, exec_lo, s6
	s_cbranch_vccnz .LBB0_21
; %bb.26:
	v_mul_lo_u32 v3, s3, v1
	v_mul_lo_u32 v4, s2, v2
	v_mad_u64_u32 v[1:2], null, s2, v1, 0
	v_add3_u32 v2, v2, v4, v3
	v_lshlrev_b64 v[1:2], 2, v[1:2]
	v_add_co_u32 v1, vcc_lo, s0, v1
	v_add_co_ci_u32_e64 v2, null, s1, v2, vcc_lo
	s_lshl_b64 s[0:1], s[4:5], 2
	v_add_co_u32 v1, vcc_lo, v1, v5
	v_add_co_ci_u32_e64 v2, null, 0, v2, vcc_lo
	v_add_co_u32 v1, vcc_lo, v1, s0
	v_add_co_ci_u32_e64 v2, null, s1, v2, vcc_lo
	global_store_dword v[1:2], v0, off
	s_endpgm
	.section	.rodata,"a",@progbits
	.p2align	6, 0x0
	.amdhsa_kernel _ZN9rocsparse31csrmmnn_row_split_shared_kernelILj256ELj8EfiifffEEvNS_24const_host_device_scalarIT1_EES3_bbbT3_S4_llPKT2_PKS4_PKT4_PKT5_llPT6_ll16rocsparse_order_21rocsparse_index_base_
		.amdhsa_group_segment_fixed_size 2048
		.amdhsa_private_segment_fixed_size 0
		.amdhsa_kernarg_size 128
		.amdhsa_user_sgpr_count 6
		.amdhsa_user_sgpr_private_segment_buffer 1
		.amdhsa_user_sgpr_dispatch_ptr 0
		.amdhsa_user_sgpr_queue_ptr 0
		.amdhsa_user_sgpr_kernarg_segment_ptr 1
		.amdhsa_user_sgpr_dispatch_id 0
		.amdhsa_user_sgpr_flat_scratch_init 0
		.amdhsa_user_sgpr_private_segment_size 0
		.amdhsa_wavefront_size32 1
		.amdhsa_uses_dynamic_stack 0
		.amdhsa_system_sgpr_private_segment_wavefront_offset 0
		.amdhsa_system_sgpr_workgroup_id_x 1
		.amdhsa_system_sgpr_workgroup_id_y 1
		.amdhsa_system_sgpr_workgroup_id_z 1
		.amdhsa_system_sgpr_workgroup_info 0
		.amdhsa_system_vgpr_workitem_id 0
		.amdhsa_next_free_vgpr 30
		.amdhsa_next_free_sgpr 44
		.amdhsa_reserve_vcc 1
		.amdhsa_reserve_flat_scratch 0
		.amdhsa_float_round_mode_32 0
		.amdhsa_float_round_mode_16_64 0
		.amdhsa_float_denorm_mode_32 3
		.amdhsa_float_denorm_mode_16_64 3
		.amdhsa_dx10_clamp 1
		.amdhsa_ieee_mode 1
		.amdhsa_fp16_overflow 0
		.amdhsa_workgroup_processor_mode 1
		.amdhsa_memory_ordered 1
		.amdhsa_forward_progress 1
		.amdhsa_shared_vgpr_count 0
		.amdhsa_exception_fp_ieee_invalid_op 0
		.amdhsa_exception_fp_denorm_src 0
		.amdhsa_exception_fp_ieee_div_zero 0
		.amdhsa_exception_fp_ieee_overflow 0
		.amdhsa_exception_fp_ieee_underflow 0
		.amdhsa_exception_fp_ieee_inexact 0
		.amdhsa_exception_int_div_zero 0
	.end_amdhsa_kernel
	.section	.text._ZN9rocsparse31csrmmnn_row_split_shared_kernelILj256ELj8EfiifffEEvNS_24const_host_device_scalarIT1_EES3_bbbT3_S4_llPKT2_PKS4_PKT4_PKT5_llPT6_ll16rocsparse_order_21rocsparse_index_base_,"axG",@progbits,_ZN9rocsparse31csrmmnn_row_split_shared_kernelILj256ELj8EfiifffEEvNS_24const_host_device_scalarIT1_EES3_bbbT3_S4_llPKT2_PKS4_PKT4_PKT5_llPT6_ll16rocsparse_order_21rocsparse_index_base_,comdat
.Lfunc_end0:
	.size	_ZN9rocsparse31csrmmnn_row_split_shared_kernelILj256ELj8EfiifffEEvNS_24const_host_device_scalarIT1_EES3_bbbT3_S4_llPKT2_PKS4_PKT4_PKT5_llPT6_ll16rocsparse_order_21rocsparse_index_base_, .Lfunc_end0-_ZN9rocsparse31csrmmnn_row_split_shared_kernelILj256ELj8EfiifffEEvNS_24const_host_device_scalarIT1_EES3_bbbT3_S4_llPKT2_PKS4_PKT4_PKT5_llPT6_ll16rocsparse_order_21rocsparse_index_base_
                                        ; -- End function
	.set _ZN9rocsparse31csrmmnn_row_split_shared_kernelILj256ELj8EfiifffEEvNS_24const_host_device_scalarIT1_EES3_bbbT3_S4_llPKT2_PKS4_PKT4_PKT5_llPT6_ll16rocsparse_order_21rocsparse_index_base_.num_vgpr, 30
	.set _ZN9rocsparse31csrmmnn_row_split_shared_kernelILj256ELj8EfiifffEEvNS_24const_host_device_scalarIT1_EES3_bbbT3_S4_llPKT2_PKS4_PKT4_PKT5_llPT6_ll16rocsparse_order_21rocsparse_index_base_.num_agpr, 0
	.set _ZN9rocsparse31csrmmnn_row_split_shared_kernelILj256ELj8EfiifffEEvNS_24const_host_device_scalarIT1_EES3_bbbT3_S4_llPKT2_PKS4_PKT4_PKT5_llPT6_ll16rocsparse_order_21rocsparse_index_base_.numbered_sgpr, 44
	.set _ZN9rocsparse31csrmmnn_row_split_shared_kernelILj256ELj8EfiifffEEvNS_24const_host_device_scalarIT1_EES3_bbbT3_S4_llPKT2_PKS4_PKT4_PKT5_llPT6_ll16rocsparse_order_21rocsparse_index_base_.num_named_barrier, 0
	.set _ZN9rocsparse31csrmmnn_row_split_shared_kernelILj256ELj8EfiifffEEvNS_24const_host_device_scalarIT1_EES3_bbbT3_S4_llPKT2_PKS4_PKT4_PKT5_llPT6_ll16rocsparse_order_21rocsparse_index_base_.private_seg_size, 0
	.set _ZN9rocsparse31csrmmnn_row_split_shared_kernelILj256ELj8EfiifffEEvNS_24const_host_device_scalarIT1_EES3_bbbT3_S4_llPKT2_PKS4_PKT4_PKT5_llPT6_ll16rocsparse_order_21rocsparse_index_base_.uses_vcc, 1
	.set _ZN9rocsparse31csrmmnn_row_split_shared_kernelILj256ELj8EfiifffEEvNS_24const_host_device_scalarIT1_EES3_bbbT3_S4_llPKT2_PKS4_PKT4_PKT5_llPT6_ll16rocsparse_order_21rocsparse_index_base_.uses_flat_scratch, 0
	.set _ZN9rocsparse31csrmmnn_row_split_shared_kernelILj256ELj8EfiifffEEvNS_24const_host_device_scalarIT1_EES3_bbbT3_S4_llPKT2_PKS4_PKT4_PKT5_llPT6_ll16rocsparse_order_21rocsparse_index_base_.has_dyn_sized_stack, 0
	.set _ZN9rocsparse31csrmmnn_row_split_shared_kernelILj256ELj8EfiifffEEvNS_24const_host_device_scalarIT1_EES3_bbbT3_S4_llPKT2_PKS4_PKT4_PKT5_llPT6_ll16rocsparse_order_21rocsparse_index_base_.has_recursion, 0
	.set _ZN9rocsparse31csrmmnn_row_split_shared_kernelILj256ELj8EfiifffEEvNS_24const_host_device_scalarIT1_EES3_bbbT3_S4_llPKT2_PKS4_PKT4_PKT5_llPT6_ll16rocsparse_order_21rocsparse_index_base_.has_indirect_call, 0
	.section	.AMDGPU.csdata,"",@progbits
; Kernel info:
; codeLenInByte = 1640
; TotalNumSgprs: 46
; NumVgprs: 30
; ScratchSize: 0
; MemoryBound: 0
; FloatMode: 240
; IeeeMode: 1
; LDSByteSize: 2048 bytes/workgroup (compile time only)
; SGPRBlocks: 0
; VGPRBlocks: 3
; NumSGPRsForWavesPerEU: 46
; NumVGPRsForWavesPerEU: 30
; Occupancy: 16
; WaveLimiterHint : 1
; COMPUTE_PGM_RSRC2:SCRATCH_EN: 0
; COMPUTE_PGM_RSRC2:USER_SGPR: 6
; COMPUTE_PGM_RSRC2:TRAP_HANDLER: 0
; COMPUTE_PGM_RSRC2:TGID_X_EN: 1
; COMPUTE_PGM_RSRC2:TGID_Y_EN: 1
; COMPUTE_PGM_RSRC2:TGID_Z_EN: 1
; COMPUTE_PGM_RSRC2:TIDIG_COMP_CNT: 0
	.section	.text._ZN9rocsparse31csrmmnn_row_split_shared_kernelILj256ELj8EflifffEEvNS_24const_host_device_scalarIT1_EES3_bbbT3_S4_llPKT2_PKS4_PKT4_PKT5_llPT6_ll16rocsparse_order_21rocsparse_index_base_,"axG",@progbits,_ZN9rocsparse31csrmmnn_row_split_shared_kernelILj256ELj8EflifffEEvNS_24const_host_device_scalarIT1_EES3_bbbT3_S4_llPKT2_PKS4_PKT4_PKT5_llPT6_ll16rocsparse_order_21rocsparse_index_base_,comdat
	.protected	_ZN9rocsparse31csrmmnn_row_split_shared_kernelILj256ELj8EflifffEEvNS_24const_host_device_scalarIT1_EES3_bbbT3_S4_llPKT2_PKS4_PKT4_PKT5_llPT6_ll16rocsparse_order_21rocsparse_index_base_ ; -- Begin function _ZN9rocsparse31csrmmnn_row_split_shared_kernelILj256ELj8EflifffEEvNS_24const_host_device_scalarIT1_EES3_bbbT3_S4_llPKT2_PKS4_PKT4_PKT5_llPT6_ll16rocsparse_order_21rocsparse_index_base_
	.globl	_ZN9rocsparse31csrmmnn_row_split_shared_kernelILj256ELj8EflifffEEvNS_24const_host_device_scalarIT1_EES3_bbbT3_S4_llPKT2_PKS4_PKT4_PKT5_llPT6_ll16rocsparse_order_21rocsparse_index_base_
	.p2align	8
	.type	_ZN9rocsparse31csrmmnn_row_split_shared_kernelILj256ELj8EflifffEEvNS_24const_host_device_scalarIT1_EES3_bbbT3_S4_llPKT2_PKS4_PKT4_PKT5_llPT6_ll16rocsparse_order_21rocsparse_index_base_,@function
_ZN9rocsparse31csrmmnn_row_split_shared_kernelILj256ELj8EflifffEEvNS_24const_host_device_scalarIT1_EES3_bbbT3_S4_llPKT2_PKS4_PKT4_PKT5_llPT6_ll16rocsparse_order_21rocsparse_index_base_: ; @_ZN9rocsparse31csrmmnn_row_split_shared_kernelILj256ELj8EflifffEEvNS_24const_host_device_scalarIT1_EES3_bbbT3_S4_llPKT2_PKS4_PKT4_PKT5_llPT6_ll16rocsparse_order_21rocsparse_index_base_
; %bb.0:
	s_load_dwordx8 s[36:43], s[4:5], 0x0
	s_waitcnt lgkmcnt(0)
	s_bitcmp1_b32 s40, 0
	s_cselect_b32 s0, -1, 0
	s_and_b32 vcc_lo, exec_lo, s0
	s_xor_b32 s0, s0, -1
	s_cbranch_vccnz .LBB1_2
; %bb.1:
	s_load_dword s36, s[36:37], 0x0
.LBB1_2:
	s_andn2_b32 vcc_lo, exec_lo, s0
	s_cbranch_vccnz .LBB1_4
; %bb.3:
	s_load_dword s38, s[38:39], 0x0
.LBB1_4:
	s_waitcnt lgkmcnt(0)
	v_cmp_eq_f32_e64 s0, s36, 0
	v_cmp_eq_f32_e64 s1, s38, 1.0
	s_and_b32 s0, s0, s1
	s_and_b32 vcc_lo, exec_lo, s0
	s_cbranch_vccnz .LBB1_21
; %bb.5:
	v_lshl_or_b32 v1, s6, 8, v0
	s_mov_b32 s0, exec_lo
	v_lshrrev_b32_e32 v11, 3, v1
	v_cmpx_gt_i32_e64 s41, v11
	s_cbranch_execz .LBB1_21
; %bb.6:
	s_load_dwordx16 s[12:27], s[4:5], 0x20
	s_ashr_i32 s6, s8, 31
	v_lshlrev_b32_e32 v1, 3, v11
	s_load_dwordx2 s[10:11], s[4:5], 0x78
	v_and_b32_e32 v12, 7, v0
	v_mov_b32_e32 v13, 0
	v_lshl_or_b32 v5, s7, 3, v12
	v_ashrrev_i32_e32 v6, 31, v5
	s_waitcnt lgkmcnt(0)
	s_mul_hi_u32 s0, s12, s8
	s_mul_i32 s1, s12, s6
	s_mul_i32 s2, s13, s8
	s_add_i32 s1, s0, s1
	s_mul_i32 s0, s12, s8
	s_add_i32 s1, s1, s2
	s_mov_b32 s2, exec_lo
	s_lshl_b64 s[0:1], s[0:1], 3
	s_add_u32 s0, s16, s0
	s_addc_u32 s1, s17, s1
	global_load_dwordx4 v[1:4], v1, s[0:1]
	s_waitcnt vmcnt(0)
	v_cmpx_lt_i64_e64 v[1:2], v[3:4]
	s_cbranch_execz .LBB1_14
; %bb.7:
	v_lshlrev_b32_e32 v0, 2, v0
	v_mul_lo_u32 v13, s25, v5
	v_mul_lo_u32 v16, s24, v6
	v_mad_u64_u32 v[9:10], null, s24, v5, 0
	v_and_b32_e32 v14, 0x3e0, v0
	v_lshlrev_b32_e32 v0, 2, v12
	v_sub_co_u32 v3, vcc_lo, v3, s11
	v_subrev_co_ci_u32_e64 v4, null, 0, v4, vcc_lo
	v_or_b32_e32 v15, 0x400, v14
	v_sub_co_u32 v7, vcc_lo, v1, s11
	v_add3_u32 v10, v10, v16, v13
	v_or_b32_e32 v16, v14, v0
	v_or_b32_e32 v17, v15, v0
	v_mad_u64_u32 v[0:1], null, s14, s8, v[1:2]
	s_mul_i32 s3, s15, s8
	s_mul_i32 s7, s14, s6
	;; [unrolled: 1-line block ×3, first 2 shown]
	s_mul_hi_u32 s1, s26, s8
	v_subrev_co_ci_u32_e64 v8, null, 0, v2, vcc_lo
	v_add3_u32 v1, s7, s3, v1
	s_add_i32 s0, s1, s0
	s_mul_i32 s1, s27, s8
	s_mul_i32 s12, s26, s8
	s_add_i32 s13, s0, s1
	v_add_co_u32 v2, s0, v0, v12
	v_add_co_ci_u32_e64 v18, null, 0, v1, s0
	v_lshlrev_b64 v[0:1], 2, v[9:10]
	v_sub_co_u32 v9, s0, v2, s11
	v_subrev_co_ci_u32_e64 v10, null, 0, v18, s0
	v_mov_b32_e32 v13, 0
	v_add_co_u32 v0, s0, s22, v0
	v_lshlrev_b64 v[9:10], 2, v[9:10]
	v_add_co_ci_u32_e64 v1, null, s23, v1, s0
	s_lshl_b64 s[0:1], s[12:13], 2
	s_mov_b32 s3, 0
	v_add_co_u32 v2, s0, v0, s0
	v_add_co_ci_u32_e64 v18, null, s1, v1, s0
	v_add_co_u32 v0, s0, s18, v9
	v_add_co_ci_u32_e64 v1, null, s19, v10, s0
	;; [unrolled: 2-line block ×3, first 2 shown]
	v_cmp_gt_i32_e32 vcc_lo, s42, v5
	s_branch .LBB1_9
.LBB1_8:                                ;   in Loop: Header=BB1_9 Depth=1
	s_or_b32 exec_lo, exec_lo, s1
	v_add_co_u32 v7, s0, v7, 8
	v_add_co_ci_u32_e64 v8, null, 0, v8, s0
	v_add_co_u32 v0, s0, v0, 32
	v_add_co_ci_u32_e64 v1, null, 0, v1, s0
	v_cmp_ge_i64_e64 s0, v[7:8], v[3:4]
	v_add_co_u32 v9, s1, v9, 32
	v_add_co_ci_u32_e64 v10, null, 0, v10, s1
	s_or_b32 s3, s0, s3
	s_andn2_b32 exec_lo, exec_lo, s3
	s_cbranch_execz .LBB1_13
.LBB1_9:                                ; =>This Inner Loop Header: Depth=1
	v_add_co_u32 v19, s0, v12, v7
	v_add_co_ci_u32_e64 v20, null, 0, v8, s0
	s_barrier
	buffer_gl0_inv
	v_cmp_lt_i64_e64 s0, v[19:20], v[3:4]
	v_mov_b32_e32 v20, 0
	v_mov_b32_e32 v19, 0
	s_and_saveexec_b32 s1, s0
	s_cbranch_execz .LBB1_11
; %bb.10:                               ;   in Loop: Header=BB1_9 Depth=1
	global_load_dword v20, v[0:1], off
	global_load_dword v19, v[9:10], off
	s_waitcnt vmcnt(1)
	v_subrev_nc_u32_e32 v20, s11, v20
.LBB1_11:                               ;   in Loop: Header=BB1_9 Depth=1
	s_or_b32 exec_lo, exec_lo, s1
	ds_write_b32 v16, v20
	s_waitcnt vmcnt(0)
	ds_write_b32 v17, v19
	s_waitcnt lgkmcnt(0)
	s_barrier
	buffer_gl0_inv
	s_and_saveexec_b32 s1, vcc_lo
	s_cbranch_execz .LBB1_8
; %bb.12:                               ;   in Loop: Header=BB1_9 Depth=1
	ds_read_b128 v[19:22], v14
	ds_read_b128 v[23:26], v14 offset:16
	s_waitcnt lgkmcnt(1)
	v_ashrrev_i32_e32 v28, 31, v19
	v_mov_b32_e32 v27, v19
	v_ashrrev_i32_e32 v30, 31, v20
	v_mov_b32_e32 v29, v20
	;; [unrolled: 2-line block ×3, first 2 shown]
	v_lshlrev_b64 v[27:28], 2, v[27:28]
	v_ashrrev_i32_e32 v32, 31, v22
	v_mov_b32_e32 v31, v22
	v_lshlrev_b64 v[29:30], 2, v[29:30]
	v_lshlrev_b64 v[19:20], 2, v[19:20]
	s_waitcnt lgkmcnt(0)
	v_ashrrev_i32_e32 v22, 31, v23
	v_add_co_u32 v27, s0, v2, v27
	v_lshlrev_b64 v[31:32], 2, v[31:32]
	v_add_co_ci_u32_e64 v28, null, v18, v28, s0
	v_add_co_u32 v29, s0, v2, v29
	v_add_co_ci_u32_e64 v30, null, v18, v30, s0
	v_add_co_u32 v19, s0, v2, v19
	;; [unrolled: 2-line block ×3, first 2 shown]
	v_mov_b32_e32 v21, v23
	v_add_co_ci_u32_e64 v32, null, v18, v32, s0
	v_ashrrev_i32_e32 v34, 31, v24
	v_mov_b32_e32 v33, v24
	s_clause 0x3
	global_load_dword v28, v[27:28], off
	global_load_dword v29, v[29:30], off
	;; [unrolled: 1-line block ×4, first 2 shown]
	v_lshlrev_b64 v[21:22], 2, v[21:22]
	v_ashrrev_i32_e32 v24, 31, v25
	v_mov_b32_e32 v23, v25
	v_lshlrev_b64 v[19:20], 2, v[33:34]
	v_ashrrev_i32_e32 v27, 31, v26
	v_add_co_u32 v21, s0, v2, v21
	v_add_co_ci_u32_e64 v22, null, v18, v22, s0
	v_add_co_u32 v19, s0, v2, v19
	v_add_co_ci_u32_e64 v20, null, v18, v20, s0
	v_lshlrev_b64 v[23:24], 2, v[23:24]
	s_clause 0x1
	global_load_dword v32, v[21:22], off
	global_load_dword v33, v[19:20], off
	v_lshlrev_b64 v[19:20], 2, v[26:27]
	v_add_co_u32 v21, s0, v2, v23
	v_add_co_ci_u32_e64 v22, null, v18, v24, s0
	v_add_co_u32 v19, s0, v2, v19
	v_add_co_ci_u32_e64 v20, null, v18, v20, s0
	s_clause 0x1
	global_load_dword v27, v[21:22], off
	global_load_dword v34, v[19:20], off
	ds_read_b128 v[19:22], v15
	ds_read_b128 v[23:26], v15 offset:16
	s_waitcnt vmcnt(7) lgkmcnt(1)
	v_fmac_f32_e32 v13, v19, v28
	s_waitcnt vmcnt(6)
	v_fmac_f32_e32 v13, v20, v29
	s_waitcnt vmcnt(5)
	;; [unrolled: 2-line block ×3, first 2 shown]
	v_fmac_f32_e32 v13, v22, v31
	s_waitcnt vmcnt(3) lgkmcnt(0)
	v_fmac_f32_e32 v13, v23, v32
	s_waitcnt vmcnt(2)
	v_fmac_f32_e32 v13, v24, v33
	s_waitcnt vmcnt(1)
	;; [unrolled: 2-line block ×3, first 2 shown]
	v_fmac_f32_e32 v13, v26, v34
	s_branch .LBB1_8
.LBB1_13:
	s_or_b32 exec_lo, exec_lo, s3
.LBB1_14:
	s_or_b32 exec_lo, exec_lo, s2
	v_cmp_gt_i32_e32 vcc_lo, s42, v5
	s_and_b32 exec_lo, exec_lo, vcc_lo
	s_cbranch_execz .LBB1_21
; %bb.15:
	s_clause 0x1
	s_load_dwordx2 s[12:13], s[4:5], 0x70
	s_load_dwordx4 s[0:3], s[4:5], 0x60
	v_cmp_neq_f32_e64 s4, s38, 0
	v_mul_f32_e32 v0, s36, v13
	s_cmp_lg_u32 s10, 1
	s_cselect_b32 s7, -1, 0
	s_and_b32 vcc_lo, exec_lo, s4
	s_waitcnt lgkmcnt(0)
	s_mul_i32 s9, s12, s6
	s_mul_hi_u32 s10, s12, s8
	s_mul_i32 s6, s13, s8
	s_mul_i32 s4, s12, s8
	s_cbranch_vccz .LBB1_22
; %bb.16:
	s_add_i32 s5, s10, s9
	s_and_b32 vcc_lo, exec_lo, s7
	s_add_i32 s5, s5, s6
	s_mov_b32 s8, -1
	s_cbranch_vccz .LBB1_18
; %bb.17:
	v_mad_u64_u32 v[1:2], null, s2, v11, 0
	s_lshl_b64 s[12:13], s[4:5], 2
	s_mov_b32 s8, 0
	v_mad_u64_u32 v[2:3], null, s3, v11, v[2:3]
	v_lshlrev_b64 v[3:4], 2, v[5:6]
	v_lshlrev_b64 v[1:2], 2, v[1:2]
	v_add_co_u32 v1, vcc_lo, s0, v1
	v_add_co_ci_u32_e64 v2, null, s1, v2, vcc_lo
	v_add_co_u32 v1, vcc_lo, v1, v3
	v_add_co_ci_u32_e64 v2, null, v2, v4, vcc_lo
	v_add_co_u32 v1, vcc_lo, v1, s12
	v_add_co_ci_u32_e64 v2, null, s13, v2, vcc_lo
	global_load_dword v3, v[1:2], off
	s_waitcnt vmcnt(0)
	v_fma_f32 v3, s38, v3, v0
	global_store_dword v[1:2], v3, off
.LBB1_18:
	s_andn2_b32 vcc_lo, exec_lo, s8
	s_cbranch_vccnz .LBB1_20
; %bb.19:
	v_mul_lo_u32 v3, s3, v5
	v_mul_lo_u32 v4, s2, v6
	v_mad_u64_u32 v[1:2], null, s2, v5, 0
	s_lshl_b64 s[12:13], s[4:5], 2
	v_add3_u32 v2, v2, v4, v3
	v_lshlrev_b32_e32 v3, 2, v11
	v_lshlrev_b64 v[1:2], 2, v[1:2]
	v_add_co_u32 v1, vcc_lo, s0, v1
	v_add_co_ci_u32_e64 v2, null, s1, v2, vcc_lo
	v_add_co_u32 v1, vcc_lo, v1, v3
	v_add_co_ci_u32_e64 v2, null, 0, v2, vcc_lo
	;; [unrolled: 2-line block ×3, first 2 shown]
	global_load_dword v3, v[1:2], off
	s_waitcnt vmcnt(0)
	v_fma_f32 v3, s38, v3, v0
	global_store_dword v[1:2], v3, off
.LBB1_20:
	s_cbranch_execz .LBB1_23
.LBB1_21:
	s_endpgm
.LBB1_22:
.LBB1_23:
	s_add_i32 s5, s10, s9
	s_and_b32 vcc_lo, exec_lo, s7
	s_add_i32 s5, s5, s6
	s_mov_b32 s6, -1
	s_cbranch_vccz .LBB1_25
; %bb.24:
	v_mad_u64_u32 v[1:2], null, s2, v11, 0
	s_lshl_b64 s[6:7], s[4:5], 2
	v_mad_u64_u32 v[2:3], null, s3, v11, v[2:3]
	v_lshlrev_b64 v[3:4], 2, v[5:6]
	v_lshlrev_b64 v[1:2], 2, v[1:2]
	v_add_co_u32 v1, vcc_lo, s0, v1
	v_add_co_ci_u32_e64 v2, null, s1, v2, vcc_lo
	v_add_co_u32 v1, vcc_lo, v1, v3
	v_add_co_ci_u32_e64 v2, null, v2, v4, vcc_lo
	;; [unrolled: 2-line block ×3, first 2 shown]
	s_mov_b32 s6, 0
	global_store_dword v[1:2], v0, off
.LBB1_25:
	s_andn2_b32 vcc_lo, exec_lo, s6
	s_cbranch_vccnz .LBB1_21
; %bb.26:
	v_mul_lo_u32 v3, s3, v5
	v_mul_lo_u32 v4, s2, v6
	v_mad_u64_u32 v[1:2], null, s2, v5, 0
	v_add3_u32 v2, v2, v4, v3
	v_lshlrev_b32_e32 v3, 2, v11
	v_lshlrev_b64 v[1:2], 2, v[1:2]
	v_add_co_u32 v1, vcc_lo, s0, v1
	v_add_co_ci_u32_e64 v2, null, s1, v2, vcc_lo
	s_lshl_b64 s[0:1], s[4:5], 2
	v_add_co_u32 v1, vcc_lo, v1, v3
	v_add_co_ci_u32_e64 v2, null, 0, v2, vcc_lo
	v_add_co_u32 v1, vcc_lo, v1, s0
	v_add_co_ci_u32_e64 v2, null, s1, v2, vcc_lo
	global_store_dword v[1:2], v0, off
	s_endpgm
	.section	.rodata,"a",@progbits
	.p2align	6, 0x0
	.amdhsa_kernel _ZN9rocsparse31csrmmnn_row_split_shared_kernelILj256ELj8EflifffEEvNS_24const_host_device_scalarIT1_EES3_bbbT3_S4_llPKT2_PKS4_PKT4_PKT5_llPT6_ll16rocsparse_order_21rocsparse_index_base_
		.amdhsa_group_segment_fixed_size 2048
		.amdhsa_private_segment_fixed_size 0
		.amdhsa_kernarg_size 128
		.amdhsa_user_sgpr_count 6
		.amdhsa_user_sgpr_private_segment_buffer 1
		.amdhsa_user_sgpr_dispatch_ptr 0
		.amdhsa_user_sgpr_queue_ptr 0
		.amdhsa_user_sgpr_kernarg_segment_ptr 1
		.amdhsa_user_sgpr_dispatch_id 0
		.amdhsa_user_sgpr_flat_scratch_init 0
		.amdhsa_user_sgpr_private_segment_size 0
		.amdhsa_wavefront_size32 1
		.amdhsa_uses_dynamic_stack 0
		.amdhsa_system_sgpr_private_segment_wavefront_offset 0
		.amdhsa_system_sgpr_workgroup_id_x 1
		.amdhsa_system_sgpr_workgroup_id_y 1
		.amdhsa_system_sgpr_workgroup_id_z 1
		.amdhsa_system_sgpr_workgroup_info 0
		.amdhsa_system_vgpr_workitem_id 0
		.amdhsa_next_free_vgpr 35
		.amdhsa_next_free_sgpr 44
		.amdhsa_reserve_vcc 1
		.amdhsa_reserve_flat_scratch 0
		.amdhsa_float_round_mode_32 0
		.amdhsa_float_round_mode_16_64 0
		.amdhsa_float_denorm_mode_32 3
		.amdhsa_float_denorm_mode_16_64 3
		.amdhsa_dx10_clamp 1
		.amdhsa_ieee_mode 1
		.amdhsa_fp16_overflow 0
		.amdhsa_workgroup_processor_mode 1
		.amdhsa_memory_ordered 1
		.amdhsa_forward_progress 1
		.amdhsa_shared_vgpr_count 0
		.amdhsa_exception_fp_ieee_invalid_op 0
		.amdhsa_exception_fp_denorm_src 0
		.amdhsa_exception_fp_ieee_div_zero 0
		.amdhsa_exception_fp_ieee_overflow 0
		.amdhsa_exception_fp_ieee_underflow 0
		.amdhsa_exception_fp_ieee_inexact 0
		.amdhsa_exception_int_div_zero 0
	.end_amdhsa_kernel
	.section	.text._ZN9rocsparse31csrmmnn_row_split_shared_kernelILj256ELj8EflifffEEvNS_24const_host_device_scalarIT1_EES3_bbbT3_S4_llPKT2_PKS4_PKT4_PKT5_llPT6_ll16rocsparse_order_21rocsparse_index_base_,"axG",@progbits,_ZN9rocsparse31csrmmnn_row_split_shared_kernelILj256ELj8EflifffEEvNS_24const_host_device_scalarIT1_EES3_bbbT3_S4_llPKT2_PKS4_PKT4_PKT5_llPT6_ll16rocsparse_order_21rocsparse_index_base_,comdat
.Lfunc_end1:
	.size	_ZN9rocsparse31csrmmnn_row_split_shared_kernelILj256ELj8EflifffEEvNS_24const_host_device_scalarIT1_EES3_bbbT3_S4_llPKT2_PKS4_PKT4_PKT5_llPT6_ll16rocsparse_order_21rocsparse_index_base_, .Lfunc_end1-_ZN9rocsparse31csrmmnn_row_split_shared_kernelILj256ELj8EflifffEEvNS_24const_host_device_scalarIT1_EES3_bbbT3_S4_llPKT2_PKS4_PKT4_PKT5_llPT6_ll16rocsparse_order_21rocsparse_index_base_
                                        ; -- End function
	.set _ZN9rocsparse31csrmmnn_row_split_shared_kernelILj256ELj8EflifffEEvNS_24const_host_device_scalarIT1_EES3_bbbT3_S4_llPKT2_PKS4_PKT4_PKT5_llPT6_ll16rocsparse_order_21rocsparse_index_base_.num_vgpr, 35
	.set _ZN9rocsparse31csrmmnn_row_split_shared_kernelILj256ELj8EflifffEEvNS_24const_host_device_scalarIT1_EES3_bbbT3_S4_llPKT2_PKS4_PKT4_PKT5_llPT6_ll16rocsparse_order_21rocsparse_index_base_.num_agpr, 0
	.set _ZN9rocsparse31csrmmnn_row_split_shared_kernelILj256ELj8EflifffEEvNS_24const_host_device_scalarIT1_EES3_bbbT3_S4_llPKT2_PKS4_PKT4_PKT5_llPT6_ll16rocsparse_order_21rocsparse_index_base_.numbered_sgpr, 44
	.set _ZN9rocsparse31csrmmnn_row_split_shared_kernelILj256ELj8EflifffEEvNS_24const_host_device_scalarIT1_EES3_bbbT3_S4_llPKT2_PKS4_PKT4_PKT5_llPT6_ll16rocsparse_order_21rocsparse_index_base_.num_named_barrier, 0
	.set _ZN9rocsparse31csrmmnn_row_split_shared_kernelILj256ELj8EflifffEEvNS_24const_host_device_scalarIT1_EES3_bbbT3_S4_llPKT2_PKS4_PKT4_PKT5_llPT6_ll16rocsparse_order_21rocsparse_index_base_.private_seg_size, 0
	.set _ZN9rocsparse31csrmmnn_row_split_shared_kernelILj256ELj8EflifffEEvNS_24const_host_device_scalarIT1_EES3_bbbT3_S4_llPKT2_PKS4_PKT4_PKT5_llPT6_ll16rocsparse_order_21rocsparse_index_base_.uses_vcc, 1
	.set _ZN9rocsparse31csrmmnn_row_split_shared_kernelILj256ELj8EflifffEEvNS_24const_host_device_scalarIT1_EES3_bbbT3_S4_llPKT2_PKS4_PKT4_PKT5_llPT6_ll16rocsparse_order_21rocsparse_index_base_.uses_flat_scratch, 0
	.set _ZN9rocsparse31csrmmnn_row_split_shared_kernelILj256ELj8EflifffEEvNS_24const_host_device_scalarIT1_EES3_bbbT3_S4_llPKT2_PKS4_PKT4_PKT5_llPT6_ll16rocsparse_order_21rocsparse_index_base_.has_dyn_sized_stack, 0
	.set _ZN9rocsparse31csrmmnn_row_split_shared_kernelILj256ELj8EflifffEEvNS_24const_host_device_scalarIT1_EES3_bbbT3_S4_llPKT2_PKS4_PKT4_PKT5_llPT6_ll16rocsparse_order_21rocsparse_index_base_.has_recursion, 0
	.set _ZN9rocsparse31csrmmnn_row_split_shared_kernelILj256ELj8EflifffEEvNS_24const_host_device_scalarIT1_EES3_bbbT3_S4_llPKT2_PKS4_PKT4_PKT5_llPT6_ll16rocsparse_order_21rocsparse_index_base_.has_indirect_call, 0
	.section	.AMDGPU.csdata,"",@progbits
; Kernel info:
; codeLenInByte = 1732
; TotalNumSgprs: 46
; NumVgprs: 35
; ScratchSize: 0
; MemoryBound: 0
; FloatMode: 240
; IeeeMode: 1
; LDSByteSize: 2048 bytes/workgroup (compile time only)
; SGPRBlocks: 0
; VGPRBlocks: 4
; NumSGPRsForWavesPerEU: 46
; NumVGPRsForWavesPerEU: 35
; Occupancy: 16
; WaveLimiterHint : 1
; COMPUTE_PGM_RSRC2:SCRATCH_EN: 0
; COMPUTE_PGM_RSRC2:USER_SGPR: 6
; COMPUTE_PGM_RSRC2:TRAP_HANDLER: 0
; COMPUTE_PGM_RSRC2:TGID_X_EN: 1
; COMPUTE_PGM_RSRC2:TGID_Y_EN: 1
; COMPUTE_PGM_RSRC2:TGID_Z_EN: 1
; COMPUTE_PGM_RSRC2:TIDIG_COMP_CNT: 0
	.section	.text._ZN9rocsparse31csrmmnn_row_split_shared_kernelILj256ELj8EfllfffEEvNS_24const_host_device_scalarIT1_EES3_bbbT3_S4_llPKT2_PKS4_PKT4_PKT5_llPT6_ll16rocsparse_order_21rocsparse_index_base_,"axG",@progbits,_ZN9rocsparse31csrmmnn_row_split_shared_kernelILj256ELj8EfllfffEEvNS_24const_host_device_scalarIT1_EES3_bbbT3_S4_llPKT2_PKS4_PKT4_PKT5_llPT6_ll16rocsparse_order_21rocsparse_index_base_,comdat
	.protected	_ZN9rocsparse31csrmmnn_row_split_shared_kernelILj256ELj8EfllfffEEvNS_24const_host_device_scalarIT1_EES3_bbbT3_S4_llPKT2_PKS4_PKT4_PKT5_llPT6_ll16rocsparse_order_21rocsparse_index_base_ ; -- Begin function _ZN9rocsparse31csrmmnn_row_split_shared_kernelILj256ELj8EfllfffEEvNS_24const_host_device_scalarIT1_EES3_bbbT3_S4_llPKT2_PKS4_PKT4_PKT5_llPT6_ll16rocsparse_order_21rocsparse_index_base_
	.globl	_ZN9rocsparse31csrmmnn_row_split_shared_kernelILj256ELj8EfllfffEEvNS_24const_host_device_scalarIT1_EES3_bbbT3_S4_llPKT2_PKS4_PKT4_PKT5_llPT6_ll16rocsparse_order_21rocsparse_index_base_
	.p2align	8
	.type	_ZN9rocsparse31csrmmnn_row_split_shared_kernelILj256ELj8EfllfffEEvNS_24const_host_device_scalarIT1_EES3_bbbT3_S4_llPKT2_PKS4_PKT4_PKT5_llPT6_ll16rocsparse_order_21rocsparse_index_base_,@function
_ZN9rocsparse31csrmmnn_row_split_shared_kernelILj256ELj8EfllfffEEvNS_24const_host_device_scalarIT1_EES3_bbbT3_S4_llPKT2_PKS4_PKT4_PKT5_llPT6_ll16rocsparse_order_21rocsparse_index_base_: ; @_ZN9rocsparse31csrmmnn_row_split_shared_kernelILj256ELj8EfllfffEEvNS_24const_host_device_scalarIT1_EES3_bbbT3_S4_llPKT2_PKS4_PKT4_PKT5_llPT6_ll16rocsparse_order_21rocsparse_index_base_
; %bb.0:
	s_clause 0x1
	s_load_dword s0, s[4:5], 0x10
	s_load_dwordx4 s[28:31], s[4:5], 0x0
	s_waitcnt lgkmcnt(0)
	s_bitcmp1_b32 s0, 0
	s_cselect_b32 s0, -1, 0
	s_and_b32 vcc_lo, exec_lo, s0
	s_xor_b32 s0, s0, -1
	s_cbranch_vccnz .LBB2_2
; %bb.1:
	s_load_dword s28, s[28:29], 0x0
.LBB2_2:
	s_andn2_b32 vcc_lo, exec_lo, s0
	s_cbranch_vccnz .LBB2_4
; %bb.3:
	s_load_dword s30, s[30:31], 0x0
.LBB2_4:
	s_waitcnt lgkmcnt(0)
	v_cmp_eq_f32_e64 s0, s28, 0
	v_cmp_eq_f32_e64 s1, s30, 1.0
	s_and_b32 s0, s0, s1
	s_and_b32 vcc_lo, exec_lo, s0
	s_cbranch_vccnz .LBB2_21
; %bb.5:
	s_load_dwordx16 s[12:27], s[4:5], 0x18
	v_lshl_or_b32 v1, s6, 8, v0
	v_mov_b32_e32 v6, 0
	s_mov_b32 s0, exec_lo
	v_lshrrev_b32_e32 v5, 3, v1
	s_waitcnt lgkmcnt(0)
	v_cmpx_gt_i64_e64 s[12:13], v[5:6]
	s_cbranch_execz .LBB2_21
; %bb.6:
	s_mul_i32 s1, s17, s8
	s_mul_hi_u32 s2, s16, s8
	s_mul_i32 s0, s16, s8
	s_add_i32 s1, s2, s1
	v_lshlrev_b32_e32 v1, 3, v5
	s_lshl_b64 s[0:1], s[0:1], 3
	v_and_b32_e32 v15, 7, v0
	s_add_u32 s0, s20, s0
	s_addc_u32 s1, s21, s1
	v_mov_b32_e32 v8, v6
	global_load_dwordx4 v[1:4], v1, s[0:1]
	s_clause 0x1
	s_load_dwordx8 s[36:43], s[4:5], 0x58
	s_load_dwordx4 s[44:47], s[4:5], 0x78
	v_lshl_or_b32 v7, s7, 3, v15
	s_mov_b32 s3, 0
	s_mov_b32 s2, exec_lo
	s_waitcnt vmcnt(0)
	v_cmpx_lt_i64_e64 v[1:2], v[3:4]
	s_cbranch_execz .LBB2_14
; %bb.7:
	s_waitcnt lgkmcnt(0)
	v_mad_u64_u32 v[9:10], null, s36, v7, 0
	v_lshrrev_b32_e32 v6, 3, v0
	v_mad_u64_u32 v[11:12], null, s18, s8, v[1:2]
	s_mul_i32 s0, s39, s8
	s_mul_hi_u32 s1, s38, s8
	s_mul_i32 s4, s38, s8
	v_mov_b32_e32 v0, v10
	s_add_i32 s5, s1, s0
	v_sub_co_u32 v3, vcc_lo, v3, s47
	v_add_co_u32 v11, s0, v11, v15
	v_mad_u64_u32 v[13:14], null, s37, v7, v[0:1]
	v_subrev_co_ci_u32_e64 v4, null, 0, v4, vcc_lo
	v_sub_co_u32 v0, vcc_lo, v1, s47
	v_lshlrev_b32_e32 v16, 6, v6
	v_subrev_co_ci_u32_e64 v1, null, 0, v2, vcc_lo
	v_mov_b32_e32 v10, v13
	v_mad_u64_u32 v[12:13], null, s19, s8, v[12:13]
	v_lshl_or_b32 v2, v6, 5, 0x800
	v_mov_b32_e32 v6, 0
	v_lshlrev_b64 v[9:10], 2, v[9:10]
	v_lshl_or_b32 v17, v15, 3, v16
	v_cmp_gt_i64_e32 vcc_lo, s[14:15], v[7:8]
	v_lshl_or_b32 v18, v15, 2, v2
	v_add_co_ci_u32_e64 v12, null, 0, v12, s0
	v_sub_co_u32 v11, s0, v11, s47
	v_subrev_co_ci_u32_e64 v12, null, 0, v12, s0
	v_add_co_u32 v13, s0, s26, v9
	v_add_co_ci_u32_e64 v14, null, s27, v10, s0
	v_lshlrev_b64 v[9:10], 3, v[11:12]
	s_lshl_b64 s[0:1], s[4:5], 2
	v_lshlrev_b64 v[11:12], 2, v[11:12]
	v_add_co_u32 v19, s0, v13, s0
	v_add_co_ci_u32_e64 v20, null, s1, v14, s0
	v_add_co_u32 v9, s0, s22, v9
	v_add_co_ci_u32_e64 v10, null, s23, v10, s0
	;; [unrolled: 2-line block ×3, first 2 shown]
	s_mov_b32 s4, s47
	s_branch .LBB2_9
.LBB2_8:                                ;   in Loop: Header=BB2_9 Depth=1
	s_or_b32 exec_lo, exec_lo, s1
	v_add_co_u32 v0, s0, v0, 8
	v_add_co_ci_u32_e64 v1, null, 0, v1, s0
	v_add_co_u32 v9, s0, v9, 64
	v_add_co_ci_u32_e64 v10, null, 0, v10, s0
	v_cmp_ge_i64_e64 s0, v[0:1], v[3:4]
	v_add_co_u32 v11, s1, v11, 32
	v_add_co_ci_u32_e64 v12, null, 0, v12, s1
	s_or_b32 s3, s0, s3
	s_andn2_b32 exec_lo, exec_lo, s3
	s_cbranch_execz .LBB2_13
.LBB2_9:                                ; =>This Inner Loop Header: Depth=1
	v_add_co_u32 v13, s0, v15, v0
	v_add_co_ci_u32_e64 v14, null, 0, v1, s0
	v_mov_b32_e32 v21, 0
	s_barrier
	v_cmp_lt_i64_e64 s0, v[13:14], v[3:4]
	v_mov_b32_e32 v13, 0
	v_mov_b32_e32 v14, 0
	buffer_gl0_inv
	s_and_saveexec_b32 s1, s0
	s_cbranch_execz .LBB2_11
; %bb.10:                               ;   in Loop: Header=BB2_9 Depth=1
	global_load_dwordx2 v[13:14], v[9:10], off
	global_load_dword v21, v[11:12], off
	s_waitcnt vmcnt(1)
	v_sub_co_u32 v13, s0, v13, s4
	v_subrev_co_ci_u32_e64 v14, null, 0, v14, s0
.LBB2_11:                               ;   in Loop: Header=BB2_9 Depth=1
	s_or_b32 exec_lo, exec_lo, s1
	ds_write_b64 v17, v[13:14]
	s_waitcnt vmcnt(0)
	ds_write_b32 v18, v21
	s_waitcnt lgkmcnt(0)
	s_barrier
	buffer_gl0_inv
	s_and_saveexec_b32 s1, vcc_lo
	s_cbranch_execz .LBB2_8
; %bb.12:                               ;   in Loop: Header=BB2_9 Depth=1
	ds_read_b128 v[21:24], v16
	ds_read_b128 v[25:28], v16 offset:16
	ds_read_b128 v[29:32], v16 offset:32
	;; [unrolled: 1-line block ×3, first 2 shown]
	s_waitcnt lgkmcnt(3)
	v_lshlrev_b64 v[13:14], 2, v[21:22]
	v_lshlrev_b64 v[21:22], 2, v[23:24]
	s_waitcnt lgkmcnt(2)
	v_lshlrev_b64 v[23:24], 2, v[25:26]
	v_lshlrev_b64 v[25:26], 2, v[27:28]
	v_add_co_u32 v13, s0, v19, v13
	v_add_co_ci_u32_e64 v14, null, v20, v14, s0
	v_add_co_u32 v21, s0, v19, v21
	v_add_co_ci_u32_e64 v22, null, v20, v22, s0
	v_add_co_u32 v23, s0, v19, v23
	global_load_dword v37, v[13:14], off
	v_add_co_ci_u32_e64 v24, null, v20, v24, s0
	v_add_co_u32 v13, s0, v19, v25
	v_add_co_ci_u32_e64 v14, null, v20, v26, s0
	s_waitcnt lgkmcnt(1)
	v_lshlrev_b64 v[25:26], 2, v[29:30]
	s_clause 0x2
	global_load_dword v29, v[21:22], off
	global_load_dword v30, v[23:24], off
	;; [unrolled: 1-line block ×3, first 2 shown]
	v_lshlrev_b64 v[13:14], 2, v[31:32]
	s_waitcnt lgkmcnt(0)
	v_lshlrev_b64 v[23:24], 2, v[33:34]
	v_add_co_u32 v21, s0, v19, v25
	v_add_co_ci_u32_e64 v22, null, v20, v26, s0
	v_add_co_u32 v13, s0, v19, v13
	v_add_co_ci_u32_e64 v14, null, v20, v14, s0
	s_clause 0x1
	global_load_dword v31, v[21:22], off
	global_load_dword v32, v[13:14], off
	v_lshlrev_b64 v[13:14], 2, v[35:36]
	v_add_co_u32 v21, s0, v19, v23
	v_add_co_ci_u32_e64 v22, null, v20, v24, s0
	v_add_co_u32 v13, s0, v19, v13
	v_add_co_ci_u32_e64 v14, null, v20, v14, s0
	s_clause 0x1
	global_load_dword v33, v[21:22], off
	global_load_dword v13, v[13:14], off
	ds_read_b128 v[21:24], v2
	ds_read_b128 v[25:28], v2 offset:16
	s_waitcnt vmcnt(7) lgkmcnt(1)
	v_fmac_f32_e32 v6, v21, v37
	s_waitcnt vmcnt(6)
	v_fmac_f32_e32 v6, v22, v29
	s_waitcnt vmcnt(5)
	;; [unrolled: 2-line block ×3, first 2 shown]
	v_fmac_f32_e32 v6, v24, v38
	s_waitcnt vmcnt(3) lgkmcnt(0)
	v_fmac_f32_e32 v6, v25, v31
	s_waitcnt vmcnt(2)
	v_fmac_f32_e32 v6, v26, v32
	s_waitcnt vmcnt(1)
	;; [unrolled: 2-line block ×3, first 2 shown]
	v_fmac_f32_e32 v6, v28, v13
	s_branch .LBB2_8
.LBB2_13:
	s_or_b32 exec_lo, exec_lo, s3
.LBB2_14:
	s_or_b32 exec_lo, exec_lo, s2
	v_cmp_gt_i64_e32 vcc_lo, s[14:15], v[7:8]
	s_and_b32 exec_lo, exec_lo, vcc_lo
	s_cbranch_execz .LBB2_21
; %bb.15:
	v_cmp_neq_f32_e64 s0, s30, 0
	v_mul_f32_e32 v0, s28, v6
	s_waitcnt lgkmcnt(0)
	s_cmp_lg_u32 s46, 1
	s_mul_i32 s3, s45, s8
	s_cselect_b32 s2, -1, 0
	s_and_b32 vcc_lo, exec_lo, s0
	s_mul_hi_u32 s4, s44, s8
	s_mul_i32 s0, s44, s8
	s_cbranch_vccz .LBB2_22
; %bb.16:
	s_add_i32 s1, s4, s3
	s_and_b32 vcc_lo, exec_lo, s2
	s_mov_b32 s5, -1
	s_cbranch_vccz .LBB2_18
; %bb.17:
	v_mad_u64_u32 v[1:2], null, s42, v5, 0
	s_lshl_b64 s[6:7], s[0:1], 2
	s_mov_b32 s5, 0
	v_mad_u64_u32 v[2:3], null, s43, v5, v[2:3]
	v_lshlrev_b64 v[3:4], 2, v[7:8]
	v_lshlrev_b64 v[1:2], 2, v[1:2]
	v_add_co_u32 v1, vcc_lo, s40, v1
	v_add_co_ci_u32_e64 v2, null, s41, v2, vcc_lo
	v_add_co_u32 v1, vcc_lo, v1, v3
	v_add_co_ci_u32_e64 v2, null, v2, v4, vcc_lo
	v_add_co_u32 v1, vcc_lo, v1, s6
	v_add_co_ci_u32_e64 v2, null, s7, v2, vcc_lo
	global_load_dword v3, v[1:2], off
	s_waitcnt vmcnt(0)
	v_fma_f32 v3, s30, v3, v0
	global_store_dword v[1:2], v3, off
.LBB2_18:
	s_andn2_b32 vcc_lo, exec_lo, s5
	s_cbranch_vccnz .LBB2_20
; %bb.19:
	v_mad_u64_u32 v[1:2], null, s42, v7, 0
	s_lshl_b64 s[6:7], s[0:1], 2
	v_mad_u64_u32 v[2:3], null, s43, v7, v[2:3]
	v_lshlrev_b32_e32 v3, 2, v5
	v_lshlrev_b64 v[1:2], 2, v[1:2]
	v_add_co_u32 v1, vcc_lo, s40, v1
	v_add_co_ci_u32_e64 v2, null, s41, v2, vcc_lo
	v_add_co_u32 v1, vcc_lo, v1, v3
	v_add_co_ci_u32_e64 v2, null, 0, v2, vcc_lo
	;; [unrolled: 2-line block ×3, first 2 shown]
	global_load_dword v3, v[1:2], off
	s_waitcnt vmcnt(0)
	v_fma_f32 v3, s30, v3, v0
	global_store_dword v[1:2], v3, off
.LBB2_20:
	s_cbranch_execz .LBB2_23
.LBB2_21:
	s_endpgm
.LBB2_22:
.LBB2_23:
	s_add_i32 s1, s4, s3
	s_and_b32 vcc_lo, exec_lo, s2
	s_mov_b32 s2, -1
	s_cbranch_vccz .LBB2_25
; %bb.24:
	v_mad_u64_u32 v[1:2], null, s42, v5, 0
	s_lshl_b64 s[2:3], s[0:1], 2
	v_mad_u64_u32 v[2:3], null, s43, v5, v[2:3]
	v_lshlrev_b64 v[3:4], 2, v[7:8]
	v_lshlrev_b64 v[1:2], 2, v[1:2]
	v_add_co_u32 v1, vcc_lo, s40, v1
	v_add_co_ci_u32_e64 v2, null, s41, v2, vcc_lo
	v_add_co_u32 v1, vcc_lo, v1, v3
	v_add_co_ci_u32_e64 v2, null, v2, v4, vcc_lo
	;; [unrolled: 2-line block ×3, first 2 shown]
	s_mov_b32 s2, 0
	global_store_dword v[1:2], v0, off
.LBB2_25:
	s_andn2_b32 vcc_lo, exec_lo, s2
	s_cbranch_vccnz .LBB2_21
; %bb.26:
	v_mad_u64_u32 v[1:2], null, s42, v7, 0
	s_lshl_b64 s[0:1], s[0:1], 2
	v_mad_u64_u32 v[2:3], null, s43, v7, v[2:3]
	v_lshlrev_b32_e32 v3, 2, v5
	v_lshlrev_b64 v[1:2], 2, v[1:2]
	v_add_co_u32 v1, vcc_lo, s40, v1
	v_add_co_ci_u32_e64 v2, null, s41, v2, vcc_lo
	v_add_co_u32 v1, vcc_lo, v1, v3
	v_add_co_ci_u32_e64 v2, null, 0, v2, vcc_lo
	;; [unrolled: 2-line block ×3, first 2 shown]
	global_store_dword v[1:2], v0, off
	s_endpgm
	.section	.rodata,"a",@progbits
	.p2align	6, 0x0
	.amdhsa_kernel _ZN9rocsparse31csrmmnn_row_split_shared_kernelILj256ELj8EfllfffEEvNS_24const_host_device_scalarIT1_EES3_bbbT3_S4_llPKT2_PKS4_PKT4_PKT5_llPT6_ll16rocsparse_order_21rocsparse_index_base_
		.amdhsa_group_segment_fixed_size 3072
		.amdhsa_private_segment_fixed_size 0
		.amdhsa_kernarg_size 136
		.amdhsa_user_sgpr_count 6
		.amdhsa_user_sgpr_private_segment_buffer 1
		.amdhsa_user_sgpr_dispatch_ptr 0
		.amdhsa_user_sgpr_queue_ptr 0
		.amdhsa_user_sgpr_kernarg_segment_ptr 1
		.amdhsa_user_sgpr_dispatch_id 0
		.amdhsa_user_sgpr_flat_scratch_init 0
		.amdhsa_user_sgpr_private_segment_size 0
		.amdhsa_wavefront_size32 1
		.amdhsa_uses_dynamic_stack 0
		.amdhsa_system_sgpr_private_segment_wavefront_offset 0
		.amdhsa_system_sgpr_workgroup_id_x 1
		.amdhsa_system_sgpr_workgroup_id_y 1
		.amdhsa_system_sgpr_workgroup_id_z 1
		.amdhsa_system_sgpr_workgroup_info 0
		.amdhsa_system_vgpr_workitem_id 0
		.amdhsa_next_free_vgpr 39
		.amdhsa_next_free_sgpr 48
		.amdhsa_reserve_vcc 1
		.amdhsa_reserve_flat_scratch 0
		.amdhsa_float_round_mode_32 0
		.amdhsa_float_round_mode_16_64 0
		.amdhsa_float_denorm_mode_32 3
		.amdhsa_float_denorm_mode_16_64 3
		.amdhsa_dx10_clamp 1
		.amdhsa_ieee_mode 1
		.amdhsa_fp16_overflow 0
		.amdhsa_workgroup_processor_mode 1
		.amdhsa_memory_ordered 1
		.amdhsa_forward_progress 1
		.amdhsa_shared_vgpr_count 0
		.amdhsa_exception_fp_ieee_invalid_op 0
		.amdhsa_exception_fp_denorm_src 0
		.amdhsa_exception_fp_ieee_div_zero 0
		.amdhsa_exception_fp_ieee_overflow 0
		.amdhsa_exception_fp_ieee_underflow 0
		.amdhsa_exception_fp_ieee_inexact 0
		.amdhsa_exception_int_div_zero 0
	.end_amdhsa_kernel
	.section	.text._ZN9rocsparse31csrmmnn_row_split_shared_kernelILj256ELj8EfllfffEEvNS_24const_host_device_scalarIT1_EES3_bbbT3_S4_llPKT2_PKS4_PKT4_PKT5_llPT6_ll16rocsparse_order_21rocsparse_index_base_,"axG",@progbits,_ZN9rocsparse31csrmmnn_row_split_shared_kernelILj256ELj8EfllfffEEvNS_24const_host_device_scalarIT1_EES3_bbbT3_S4_llPKT2_PKS4_PKT4_PKT5_llPT6_ll16rocsparse_order_21rocsparse_index_base_,comdat
.Lfunc_end2:
	.size	_ZN9rocsparse31csrmmnn_row_split_shared_kernelILj256ELj8EfllfffEEvNS_24const_host_device_scalarIT1_EES3_bbbT3_S4_llPKT2_PKS4_PKT4_PKT5_llPT6_ll16rocsparse_order_21rocsparse_index_base_, .Lfunc_end2-_ZN9rocsparse31csrmmnn_row_split_shared_kernelILj256ELj8EfllfffEEvNS_24const_host_device_scalarIT1_EES3_bbbT3_S4_llPKT2_PKS4_PKT4_PKT5_llPT6_ll16rocsparse_order_21rocsparse_index_base_
                                        ; -- End function
	.set _ZN9rocsparse31csrmmnn_row_split_shared_kernelILj256ELj8EfllfffEEvNS_24const_host_device_scalarIT1_EES3_bbbT3_S4_llPKT2_PKS4_PKT4_PKT5_llPT6_ll16rocsparse_order_21rocsparse_index_base_.num_vgpr, 39
	.set _ZN9rocsparse31csrmmnn_row_split_shared_kernelILj256ELj8EfllfffEEvNS_24const_host_device_scalarIT1_EES3_bbbT3_S4_llPKT2_PKS4_PKT4_PKT5_llPT6_ll16rocsparse_order_21rocsparse_index_base_.num_agpr, 0
	.set _ZN9rocsparse31csrmmnn_row_split_shared_kernelILj256ELj8EfllfffEEvNS_24const_host_device_scalarIT1_EES3_bbbT3_S4_llPKT2_PKS4_PKT4_PKT5_llPT6_ll16rocsparse_order_21rocsparse_index_base_.numbered_sgpr, 48
	.set _ZN9rocsparse31csrmmnn_row_split_shared_kernelILj256ELj8EfllfffEEvNS_24const_host_device_scalarIT1_EES3_bbbT3_S4_llPKT2_PKS4_PKT4_PKT5_llPT6_ll16rocsparse_order_21rocsparse_index_base_.num_named_barrier, 0
	.set _ZN9rocsparse31csrmmnn_row_split_shared_kernelILj256ELj8EfllfffEEvNS_24const_host_device_scalarIT1_EES3_bbbT3_S4_llPKT2_PKS4_PKT4_PKT5_llPT6_ll16rocsparse_order_21rocsparse_index_base_.private_seg_size, 0
	.set _ZN9rocsparse31csrmmnn_row_split_shared_kernelILj256ELj8EfllfffEEvNS_24const_host_device_scalarIT1_EES3_bbbT3_S4_llPKT2_PKS4_PKT4_PKT5_llPT6_ll16rocsparse_order_21rocsparse_index_base_.uses_vcc, 1
	.set _ZN9rocsparse31csrmmnn_row_split_shared_kernelILj256ELj8EfllfffEEvNS_24const_host_device_scalarIT1_EES3_bbbT3_S4_llPKT2_PKS4_PKT4_PKT5_llPT6_ll16rocsparse_order_21rocsparse_index_base_.uses_flat_scratch, 0
	.set _ZN9rocsparse31csrmmnn_row_split_shared_kernelILj256ELj8EfllfffEEvNS_24const_host_device_scalarIT1_EES3_bbbT3_S4_llPKT2_PKS4_PKT4_PKT5_llPT6_ll16rocsparse_order_21rocsparse_index_base_.has_dyn_sized_stack, 0
	.set _ZN9rocsparse31csrmmnn_row_split_shared_kernelILj256ELj8EfllfffEEvNS_24const_host_device_scalarIT1_EES3_bbbT3_S4_llPKT2_PKS4_PKT4_PKT5_llPT6_ll16rocsparse_order_21rocsparse_index_base_.has_recursion, 0
	.set _ZN9rocsparse31csrmmnn_row_split_shared_kernelILj256ELj8EfllfffEEvNS_24const_host_device_scalarIT1_EES3_bbbT3_S4_llPKT2_PKS4_PKT4_PKT5_llPT6_ll16rocsparse_order_21rocsparse_index_base_.has_indirect_call, 0
	.section	.AMDGPU.csdata,"",@progbits
; Kernel info:
; codeLenInByte = 1656
; TotalNumSgprs: 50
; NumVgprs: 39
; ScratchSize: 0
; MemoryBound: 0
; FloatMode: 240
; IeeeMode: 1
; LDSByteSize: 3072 bytes/workgroup (compile time only)
; SGPRBlocks: 0
; VGPRBlocks: 4
; NumSGPRsForWavesPerEU: 50
; NumVGPRsForWavesPerEU: 39
; Occupancy: 16
; WaveLimiterHint : 0
; COMPUTE_PGM_RSRC2:SCRATCH_EN: 0
; COMPUTE_PGM_RSRC2:USER_SGPR: 6
; COMPUTE_PGM_RSRC2:TRAP_HANDLER: 0
; COMPUTE_PGM_RSRC2:TGID_X_EN: 1
; COMPUTE_PGM_RSRC2:TGID_Y_EN: 1
; COMPUTE_PGM_RSRC2:TGID_Z_EN: 1
; COMPUTE_PGM_RSRC2:TIDIG_COMP_CNT: 0
	.section	.text._ZN9rocsparse31csrmmnn_row_split_shared_kernelILj256ELj8EdiidddEEvNS_24const_host_device_scalarIT1_EES3_bbbT3_S4_llPKT2_PKS4_PKT4_PKT5_llPT6_ll16rocsparse_order_21rocsparse_index_base_,"axG",@progbits,_ZN9rocsparse31csrmmnn_row_split_shared_kernelILj256ELj8EdiidddEEvNS_24const_host_device_scalarIT1_EES3_bbbT3_S4_llPKT2_PKS4_PKT4_PKT5_llPT6_ll16rocsparse_order_21rocsparse_index_base_,comdat
	.protected	_ZN9rocsparse31csrmmnn_row_split_shared_kernelILj256ELj8EdiidddEEvNS_24const_host_device_scalarIT1_EES3_bbbT3_S4_llPKT2_PKS4_PKT4_PKT5_llPT6_ll16rocsparse_order_21rocsparse_index_base_ ; -- Begin function _ZN9rocsparse31csrmmnn_row_split_shared_kernelILj256ELj8EdiidddEEvNS_24const_host_device_scalarIT1_EES3_bbbT3_S4_llPKT2_PKS4_PKT4_PKT5_llPT6_ll16rocsparse_order_21rocsparse_index_base_
	.globl	_ZN9rocsparse31csrmmnn_row_split_shared_kernelILj256ELj8EdiidddEEvNS_24const_host_device_scalarIT1_EES3_bbbT3_S4_llPKT2_PKS4_PKT4_PKT5_llPT6_ll16rocsparse_order_21rocsparse_index_base_
	.p2align	8
	.type	_ZN9rocsparse31csrmmnn_row_split_shared_kernelILj256ELj8EdiidddEEvNS_24const_host_device_scalarIT1_EES3_bbbT3_S4_llPKT2_PKS4_PKT4_PKT5_llPT6_ll16rocsparse_order_21rocsparse_index_base_,@function
_ZN9rocsparse31csrmmnn_row_split_shared_kernelILj256ELj8EdiidddEEvNS_24const_host_device_scalarIT1_EES3_bbbT3_S4_llPKT2_PKS4_PKT4_PKT5_llPT6_ll16rocsparse_order_21rocsparse_index_base_: ; @_ZN9rocsparse31csrmmnn_row_split_shared_kernelILj256ELj8EdiidddEEvNS_24const_host_device_scalarIT1_EES3_bbbT3_S4_llPKT2_PKS4_PKT4_PKT5_llPT6_ll16rocsparse_order_21rocsparse_index_base_
; %bb.0:
	s_load_dwordx8 s[24:31], s[4:5], 0x0
	s_waitcnt lgkmcnt(0)
	s_bitcmp1_b32 s28, 0
	v_mov_b32_e32 v5, s24
	v_mov_b32_e32 v6, s25
	s_cselect_b32 s0, -1, 0
	s_and_b32 vcc_lo, exec_lo, s0
	s_xor_b32 s0, s0, -1
	s_cbranch_vccnz .LBB3_2
; %bb.1:
	v_mov_b32_e32 v1, s24
	v_mov_b32_e32 v2, s25
	flat_load_dwordx2 v[5:6], v[1:2]
.LBB3_2:
	v_mov_b32_e32 v1, s26
	v_mov_b32_e32 v2, s27
	s_andn2_b32 vcc_lo, exec_lo, s0
	s_cbranch_vccnz .LBB3_4
; %bb.3:
	v_mov_b32_e32 v1, s26
	v_mov_b32_e32 v2, s27
	flat_load_dwordx2 v[1:2], v[1:2]
.LBB3_4:
	s_waitcnt vmcnt(0) lgkmcnt(0)
	v_cmp_neq_f64_e32 vcc_lo, 0, v[5:6]
	v_cmp_neq_f64_e64 s0, 1.0, v[1:2]
	s_or_b32 s0, vcc_lo, s0
	s_and_saveexec_b32 s1, s0
	s_cbranch_execz .LBB3_25
; %bb.5:
	v_lshl_or_b32 v3, s6, 8, v0
	v_lshrrev_b32_e32 v11, 3, v3
	v_cmp_gt_i32_e32 vcc_lo, s29, v11
	s_and_b32 exec_lo, exec_lo, vcc_lo
	s_cbranch_execz .LBB3_25
; %bb.6:
	s_load_dwordx16 s[12:27], s[4:5], 0x20
	s_ashr_i32 s6, s8, 31
	v_lshlrev_b32_e32 v3, 2, v11
	s_load_dwordx2 s[10:11], s[4:5], 0x78
	v_and_b32_e32 v12, 7, v0
	v_mov_b32_e32 v7, 0
	v_mov_b32_e32 v8, 0
	s_waitcnt lgkmcnt(0)
	s_mul_hi_u32 s0, s12, s8
	s_mul_i32 s1, s12, s6
	s_mul_i32 s2, s13, s8
	s_add_i32 s1, s0, s1
	s_mul_i32 s0, s12, s8
	s_add_i32 s1, s1, s2
	s_lshl_b64 s[0:1], s[0:1], 2
	s_add_u32 s0, s16, s0
	s_addc_u32 s1, s17, s1
	global_load_dwordx2 v[9:10], v3, s[0:1]
	v_lshl_or_b32 v3, s7, 3, v12
	s_mov_b32 s1, exec_lo
	v_ashrrev_i32_e32 v4, 31, v3
	s_waitcnt vmcnt(0)
	v_cmpx_lt_i32_e64 v9, v10
	s_cbranch_execz .LBB3_14
; %bb.7:
	v_mul_lo_u32 v16, s25, v3
	v_mul_lo_u32 v17, s24, v4
	v_mad_u64_u32 v[7:8], null, s24, v3, 0
	s_mul_i32 s0, s14, s6
	s_mul_hi_u32 s2, s14, s8
	v_lshrrev_b32_e32 v15, 3, v0
	s_add_i32 s7, s2, s0
	s_mul_i32 s0, s26, s6
	s_mul_hi_u32 s2, s26, s8
	v_add3_u32 v8, v8, v17, v16
	s_add_i32 s0, s2, s0
	s_mul_i32 s2, s27, s8
	v_subrev_nc_u32_e32 v14, s11, v9
	s_add_i32 s3, s0, s2
	v_lshlrev_b64 v[7:8], 3, v[7:8]
	s_mul_i32 s2, s26, s8
	v_lshl_or_b32 v0, v15, 5, 0x800
	v_subrev_nc_u32_e32 v13, s11, v10
	v_lshlrev_b32_e32 v15, 6, v15
	s_lshl_b64 s[2:3], s[2:3], 3
	v_add_co_u32 v9, s0, s22, v7
	v_add_co_ci_u32_e64 v10, null, s23, v8, s0
	v_mov_b32_e32 v7, 0
	v_add_co_u32 v18, s0, v9, s2
	v_lshl_or_b32 v16, v12, 2, v0
	v_lshl_or_b32 v17, v12, 3, v15
	v_mov_b32_e32 v8, 0
	v_add_co_ci_u32_e64 v19, null, s3, v10, s0
	s_mul_i32 s9, s15, s8
	s_mov_b32 s3, 0
	s_add_i32 s2, s7, s9
	s_mul_i32 s7, s14, s8
	v_cmp_gt_i32_e32 vcc_lo, s30, v3
	s_branch .LBB3_9
.LBB3_8:                                ;   in Loop: Header=BB3_9 Depth=1
	s_or_b32 exec_lo, exec_lo, s9
	v_add_nc_u32_e32 v14, 8, v14
	v_cmp_ge_i32_e64 s0, v14, v13
	s_or_b32 s3, s0, s3
	s_andn2_b32 exec_lo, exec_lo, s3
	s_cbranch_execz .LBB3_13
.LBB3_9:                                ; =>This Inner Loop Header: Depth=1
	v_mov_b32_e32 v9, 0
	v_add_nc_u32_e32 v20, v12, v14
	v_mov_b32_e32 v10, 0
	v_mov_b32_e32 v21, 0
	s_mov_b32 s9, exec_lo
	s_barrier
	buffer_gl0_inv
	v_cmpx_lt_i32_e64 v20, v13
	s_cbranch_execz .LBB3_11
; %bb.10:                               ;   in Loop: Header=BB3_9 Depth=1
	v_ashrrev_i32_e32 v10, 31, v20
	v_add_co_u32 v9, s0, s7, v20
	v_add_co_ci_u32_e64 v10, null, s2, v10, s0
	v_lshlrev_b64 v[20:21], 2, v[9:10]
	v_lshlrev_b64 v[9:10], 3, v[9:10]
	v_add_co_u32 v20, s0, s18, v20
	v_add_co_ci_u32_e64 v21, null, s19, v21, s0
	v_add_co_u32 v9, s0, s20, v9
	v_add_co_ci_u32_e64 v10, null, s21, v10, s0
	global_load_dword v20, v[20:21], off
	global_load_dwordx2 v[9:10], v[9:10], off
	s_waitcnt vmcnt(1)
	v_subrev_nc_u32_e32 v21, s11, v20
.LBB3_11:                               ;   in Loop: Header=BB3_9 Depth=1
	s_or_b32 exec_lo, exec_lo, s9
	ds_write_b32 v16, v21
	s_waitcnt vmcnt(0)
	ds_write_b64 v17, v[9:10]
	s_waitcnt lgkmcnt(0)
	s_barrier
	buffer_gl0_inv
	s_and_saveexec_b32 s9, vcc_lo
	s_cbranch_execz .LBB3_8
; %bb.12:                               ;   in Loop: Header=BB3_9 Depth=1
	ds_read_b128 v[20:23], v0
	ds_read_b128 v[24:27], v0 offset:16
	s_waitcnt lgkmcnt(1)
	v_ashrrev_i32_e32 v10, 31, v20
	v_mov_b32_e32 v9, v20
	v_ashrrev_i32_e32 v29, 31, v21
	v_mov_b32_e32 v28, v21
	v_lshlrev_b64 v[9:10], 3, v[9:10]
	v_lshlrev_b64 v[20:21], 3, v[28:29]
	v_add_co_u32 v9, s0, v18, v9
	v_add_co_ci_u32_e64 v10, null, v19, v10, s0
	v_add_co_u32 v20, s0, v18, v20
	v_add_co_ci_u32_e64 v21, null, v19, v21, s0
	s_clause 0x1
	global_load_dwordx2 v[9:10], v[9:10], off
	global_load_dwordx2 v[28:29], v[20:21], off
	v_ashrrev_i32_e32 v21, 31, v22
	v_mov_b32_e32 v20, v22
	v_lshlrev_b64 v[20:21], 3, v[20:21]
	v_add_co_u32 v20, s0, v18, v20
	v_add_co_ci_u32_e64 v21, null, v19, v21, s0
	global_load_dwordx2 v[30:31], v[20:21], off
	v_ashrrev_i32_e32 v21, 31, v23
	v_mov_b32_e32 v20, v23
	v_lshlrev_b64 v[20:21], 3, v[20:21]
	v_add_co_u32 v20, s0, v18, v20
	v_add_co_ci_u32_e64 v21, null, v19, v21, s0
	global_load_dwordx2 v[32:33], v[20:21], off
	s_waitcnt lgkmcnt(0)
	v_ashrrev_i32_e32 v21, 31, v24
	v_mov_b32_e32 v20, v24
	v_lshlrev_b64 v[20:21], 3, v[20:21]
	v_add_co_u32 v20, s0, v18, v20
	v_add_co_ci_u32_e64 v21, null, v19, v21, s0
	global_load_dwordx2 v[34:35], v[20:21], off
	v_ashrrev_i32_e32 v21, 31, v25
	v_mov_b32_e32 v20, v25
	v_lshlrev_b64 v[20:21], 3, v[20:21]
	v_add_co_u32 v20, s0, v18, v20
	v_add_co_ci_u32_e64 v21, null, v19, v21, s0
	global_load_dwordx2 v[36:37], v[20:21], off
	;; [unrolled: 6-line block ×4, first 2 shown]
	ds_read_b128 v[20:23], v15
	ds_read_b128 v[24:27], v15 offset:16
	s_waitcnt vmcnt(7) lgkmcnt(1)
	v_fma_f64 v[7:8], v[20:21], v[9:10], v[7:8]
	s_waitcnt vmcnt(6)
	v_fma_f64 v[7:8], v[22:23], v[28:29], v[7:8]
	s_waitcnt vmcnt(5) lgkmcnt(0)
	v_fma_f64 v[7:8], v[24:25], v[30:31], v[7:8]
	s_waitcnt vmcnt(4)
	v_fma_f64 v[24:25], v[26:27], v[32:33], v[7:8]
	ds_read_b128 v[7:10], v15 offset:32
	ds_read_b128 v[20:23], v15 offset:48
	s_waitcnt vmcnt(3) lgkmcnt(1)
	v_fma_f64 v[7:8], v[7:8], v[34:35], v[24:25]
	s_waitcnt vmcnt(2)
	v_fma_f64 v[7:8], v[9:10], v[36:37], v[7:8]
	s_waitcnt vmcnt(1) lgkmcnt(0)
	v_fma_f64 v[7:8], v[20:21], v[38:39], v[7:8]
	s_waitcnt vmcnt(0)
	v_fma_f64 v[7:8], v[22:23], v[40:41], v[7:8]
	s_branch .LBB3_8
.LBB3_13:
	s_or_b32 exec_lo, exec_lo, s3
.LBB3_14:
	s_or_b32 exec_lo, exec_lo, s1
	v_cmp_gt_i32_e32 vcc_lo, s30, v3
	s_and_b32 exec_lo, exec_lo, vcc_lo
	s_cbranch_execz .LBB3_25
; %bb.15:
	s_clause 0x1
	s_load_dwordx2 s[12:13], s[4:5], 0x70
	s_load_dwordx4 s[0:3], s[4:5], 0x60
	v_mul_f64 v[5:6], v[5:6], v[7:8]
	s_cmp_lg_u32 s10, 1
	s_mov_b32 s5, exec_lo
	s_cselect_b32 s7, -1, 0
	s_waitcnt lgkmcnt(0)
	s_mul_i32 s9, s12, s6
	s_mul_hi_u32 s10, s12, s8
	s_mul_i32 s6, s13, s8
	s_mul_i32 s4, s12, s8
	v_cmpx_neq_f64_e32 0, v[1:2]
	s_xor_b32 s8, exec_lo, s5
	s_cbranch_execz .LBB3_20
; %bb.16:
	s_add_i32 s5, s10, s9
	s_and_b32 vcc_lo, exec_lo, s7
	s_add_i32 s5, s5, s6
	s_mov_b32 s11, -1
	s_cbranch_vccz .LBB3_18
; %bb.17:
	v_mad_u64_u32 v[7:8], null, s2, v11, 0
	s_lshl_b64 s[12:13], s[4:5], 3
	s_mov_b32 s11, 0
	v_mov_b32_e32 v0, v8
	v_mad_u64_u32 v[8:9], null, s3, v11, v[0:1]
	v_lshlrev_b64 v[9:10], 3, v[3:4]
	v_lshlrev_b64 v[7:8], 3, v[7:8]
	v_add_co_u32 v0, vcc_lo, s0, v7
	v_add_co_ci_u32_e64 v7, null, s1, v8, vcc_lo
	v_add_co_u32 v0, vcc_lo, v0, v9
	v_add_co_ci_u32_e64 v8, null, v7, v10, vcc_lo
	;; [unrolled: 2-line block ×3, first 2 shown]
	global_load_dwordx2 v[9:10], v[7:8], off
	s_waitcnt vmcnt(0)
	v_fma_f64 v[9:10], v[1:2], v[9:10], v[5:6]
	global_store_dwordx2 v[7:8], v[9:10], off
.LBB3_18:
	s_andn2_b32 vcc_lo, exec_lo, s11
	s_cbranch_vccnz .LBB3_20
; %bb.19:
	v_mul_lo_u32 v0, s3, v3
	v_mul_lo_u32 v7, s2, v4
	v_mad_u64_u32 v[3:4], null, s2, v3, 0
	s_lshl_b64 s[12:13], s[4:5], 3
	v_add3_u32 v4, v4, v7, v0
	v_lshlrev_b32_e32 v0, 3, v11
                                        ; implicit-def: $vgpr11
	v_lshlrev_b64 v[3:4], 3, v[3:4]
	v_add_co_u32 v3, vcc_lo, s0, v3
	v_add_co_ci_u32_e64 v4, null, s1, v4, vcc_lo
	v_add_co_u32 v0, vcc_lo, v3, v0
	v_add_co_ci_u32_e64 v4, null, 0, v4, vcc_lo
	;; [unrolled: 2-line block ×3, first 2 shown]
	global_load_dwordx2 v[7:8], v[3:4], off
	s_waitcnt vmcnt(0)
	v_fma_f64 v[0:1], v[1:2], v[7:8], v[5:6]
                                        ; implicit-def: $vgpr5_vgpr6
	global_store_dwordx2 v[3:4], v[0:1], off
                                        ; implicit-def: $vgpr3_vgpr4
.LBB3_20:
	s_andn2_saveexec_b32 s5, s8
	s_cbranch_execz .LBB3_25
; %bb.21:
	s_add_i32 s5, s10, s9
	s_and_b32 vcc_lo, exec_lo, s7
	s_add_i32 s5, s5, s6
	s_mov_b32 s6, -1
	s_cbranch_vccz .LBB3_23
; %bb.22:
	v_mad_u64_u32 v[0:1], null, s2, v11, 0
	v_lshlrev_b64 v[7:8], 3, v[3:4]
	s_lshl_b64 s[6:7], s[4:5], 3
	v_mad_u64_u32 v[1:2], null, s3, v11, v[1:2]
	v_lshlrev_b64 v[0:1], 3, v[0:1]
	v_add_co_u32 v0, vcc_lo, s0, v0
	v_add_co_ci_u32_e64 v1, null, s1, v1, vcc_lo
	v_add_co_u32 v0, vcc_lo, v0, v7
	v_add_co_ci_u32_e64 v1, null, v1, v8, vcc_lo
	;; [unrolled: 2-line block ×3, first 2 shown]
	s_mov_b32 s6, 0
	global_store_dwordx2 v[0:1], v[5:6], off
.LBB3_23:
	s_andn2_b32 vcc_lo, exec_lo, s6
	s_cbranch_vccnz .LBB3_25
; %bb.24:
	v_mul_lo_u32 v2, s3, v3
	v_mul_lo_u32 v4, s2, v4
	v_mad_u64_u32 v[0:1], null, s2, v3, 0
	v_add3_u32 v1, v1, v4, v2
	v_lshlrev_b32_e32 v2, 3, v11
	v_lshlrev_b64 v[0:1], 3, v[0:1]
	v_add_co_u32 v0, vcc_lo, s0, v0
	v_add_co_ci_u32_e64 v1, null, s1, v1, vcc_lo
	s_lshl_b64 s[0:1], s[4:5], 3
	v_add_co_u32 v0, vcc_lo, v0, v2
	v_add_co_ci_u32_e64 v1, null, 0, v1, vcc_lo
	v_add_co_u32 v0, vcc_lo, v0, s0
	v_add_co_ci_u32_e64 v1, null, s1, v1, vcc_lo
	global_store_dwordx2 v[0:1], v[5:6], off
.LBB3_25:
	s_endpgm
	.section	.rodata,"a",@progbits
	.p2align	6, 0x0
	.amdhsa_kernel _ZN9rocsparse31csrmmnn_row_split_shared_kernelILj256ELj8EdiidddEEvNS_24const_host_device_scalarIT1_EES3_bbbT3_S4_llPKT2_PKS4_PKT4_PKT5_llPT6_ll16rocsparse_order_21rocsparse_index_base_
		.amdhsa_group_segment_fixed_size 3072
		.amdhsa_private_segment_fixed_size 0
		.amdhsa_kernarg_size 128
		.amdhsa_user_sgpr_count 6
		.amdhsa_user_sgpr_private_segment_buffer 1
		.amdhsa_user_sgpr_dispatch_ptr 0
		.amdhsa_user_sgpr_queue_ptr 0
		.amdhsa_user_sgpr_kernarg_segment_ptr 1
		.amdhsa_user_sgpr_dispatch_id 0
		.amdhsa_user_sgpr_flat_scratch_init 0
		.amdhsa_user_sgpr_private_segment_size 0
		.amdhsa_wavefront_size32 1
		.amdhsa_uses_dynamic_stack 0
		.amdhsa_system_sgpr_private_segment_wavefront_offset 0
		.amdhsa_system_sgpr_workgroup_id_x 1
		.amdhsa_system_sgpr_workgroup_id_y 1
		.amdhsa_system_sgpr_workgroup_id_z 1
		.amdhsa_system_sgpr_workgroup_info 0
		.amdhsa_system_vgpr_workitem_id 0
		.amdhsa_next_free_vgpr 42
		.amdhsa_next_free_sgpr 32
		.amdhsa_reserve_vcc 1
		.amdhsa_reserve_flat_scratch 0
		.amdhsa_float_round_mode_32 0
		.amdhsa_float_round_mode_16_64 0
		.amdhsa_float_denorm_mode_32 3
		.amdhsa_float_denorm_mode_16_64 3
		.amdhsa_dx10_clamp 1
		.amdhsa_ieee_mode 1
		.amdhsa_fp16_overflow 0
		.amdhsa_workgroup_processor_mode 1
		.amdhsa_memory_ordered 1
		.amdhsa_forward_progress 1
		.amdhsa_shared_vgpr_count 0
		.amdhsa_exception_fp_ieee_invalid_op 0
		.amdhsa_exception_fp_denorm_src 0
		.amdhsa_exception_fp_ieee_div_zero 0
		.amdhsa_exception_fp_ieee_overflow 0
		.amdhsa_exception_fp_ieee_underflow 0
		.amdhsa_exception_fp_ieee_inexact 0
		.amdhsa_exception_int_div_zero 0
	.end_amdhsa_kernel
	.section	.text._ZN9rocsparse31csrmmnn_row_split_shared_kernelILj256ELj8EdiidddEEvNS_24const_host_device_scalarIT1_EES3_bbbT3_S4_llPKT2_PKS4_PKT4_PKT5_llPT6_ll16rocsparse_order_21rocsparse_index_base_,"axG",@progbits,_ZN9rocsparse31csrmmnn_row_split_shared_kernelILj256ELj8EdiidddEEvNS_24const_host_device_scalarIT1_EES3_bbbT3_S4_llPKT2_PKS4_PKT4_PKT5_llPT6_ll16rocsparse_order_21rocsparse_index_base_,comdat
.Lfunc_end3:
	.size	_ZN9rocsparse31csrmmnn_row_split_shared_kernelILj256ELj8EdiidddEEvNS_24const_host_device_scalarIT1_EES3_bbbT3_S4_llPKT2_PKS4_PKT4_PKT5_llPT6_ll16rocsparse_order_21rocsparse_index_base_, .Lfunc_end3-_ZN9rocsparse31csrmmnn_row_split_shared_kernelILj256ELj8EdiidddEEvNS_24const_host_device_scalarIT1_EES3_bbbT3_S4_llPKT2_PKS4_PKT4_PKT5_llPT6_ll16rocsparse_order_21rocsparse_index_base_
                                        ; -- End function
	.set _ZN9rocsparse31csrmmnn_row_split_shared_kernelILj256ELj8EdiidddEEvNS_24const_host_device_scalarIT1_EES3_bbbT3_S4_llPKT2_PKS4_PKT4_PKT5_llPT6_ll16rocsparse_order_21rocsparse_index_base_.num_vgpr, 42
	.set _ZN9rocsparse31csrmmnn_row_split_shared_kernelILj256ELj8EdiidddEEvNS_24const_host_device_scalarIT1_EES3_bbbT3_S4_llPKT2_PKS4_PKT4_PKT5_llPT6_ll16rocsparse_order_21rocsparse_index_base_.num_agpr, 0
	.set _ZN9rocsparse31csrmmnn_row_split_shared_kernelILj256ELj8EdiidddEEvNS_24const_host_device_scalarIT1_EES3_bbbT3_S4_llPKT2_PKS4_PKT4_PKT5_llPT6_ll16rocsparse_order_21rocsparse_index_base_.numbered_sgpr, 32
	.set _ZN9rocsparse31csrmmnn_row_split_shared_kernelILj256ELj8EdiidddEEvNS_24const_host_device_scalarIT1_EES3_bbbT3_S4_llPKT2_PKS4_PKT4_PKT5_llPT6_ll16rocsparse_order_21rocsparse_index_base_.num_named_barrier, 0
	.set _ZN9rocsparse31csrmmnn_row_split_shared_kernelILj256ELj8EdiidddEEvNS_24const_host_device_scalarIT1_EES3_bbbT3_S4_llPKT2_PKS4_PKT4_PKT5_llPT6_ll16rocsparse_order_21rocsparse_index_base_.private_seg_size, 0
	.set _ZN9rocsparse31csrmmnn_row_split_shared_kernelILj256ELj8EdiidddEEvNS_24const_host_device_scalarIT1_EES3_bbbT3_S4_llPKT2_PKS4_PKT4_PKT5_llPT6_ll16rocsparse_order_21rocsparse_index_base_.uses_vcc, 1
	.set _ZN9rocsparse31csrmmnn_row_split_shared_kernelILj256ELj8EdiidddEEvNS_24const_host_device_scalarIT1_EES3_bbbT3_S4_llPKT2_PKS4_PKT4_PKT5_llPT6_ll16rocsparse_order_21rocsparse_index_base_.uses_flat_scratch, 0
	.set _ZN9rocsparse31csrmmnn_row_split_shared_kernelILj256ELj8EdiidddEEvNS_24const_host_device_scalarIT1_EES3_bbbT3_S4_llPKT2_PKS4_PKT4_PKT5_llPT6_ll16rocsparse_order_21rocsparse_index_base_.has_dyn_sized_stack, 0
	.set _ZN9rocsparse31csrmmnn_row_split_shared_kernelILj256ELj8EdiidddEEvNS_24const_host_device_scalarIT1_EES3_bbbT3_S4_llPKT2_PKS4_PKT4_PKT5_llPT6_ll16rocsparse_order_21rocsparse_index_base_.has_recursion, 0
	.set _ZN9rocsparse31csrmmnn_row_split_shared_kernelILj256ELj8EdiidddEEvNS_24const_host_device_scalarIT1_EES3_bbbT3_S4_llPKT2_PKS4_PKT4_PKT5_llPT6_ll16rocsparse_order_21rocsparse_index_base_.has_indirect_call, 0
	.section	.AMDGPU.csdata,"",@progbits
; Kernel info:
; codeLenInByte = 1740
; TotalNumSgprs: 34
; NumVgprs: 42
; ScratchSize: 0
; MemoryBound: 0
; FloatMode: 240
; IeeeMode: 1
; LDSByteSize: 3072 bytes/workgroup (compile time only)
; SGPRBlocks: 0
; VGPRBlocks: 5
; NumSGPRsForWavesPerEU: 34
; NumVGPRsForWavesPerEU: 42
; Occupancy: 16
; WaveLimiterHint : 1
; COMPUTE_PGM_RSRC2:SCRATCH_EN: 0
; COMPUTE_PGM_RSRC2:USER_SGPR: 6
; COMPUTE_PGM_RSRC2:TRAP_HANDLER: 0
; COMPUTE_PGM_RSRC2:TGID_X_EN: 1
; COMPUTE_PGM_RSRC2:TGID_Y_EN: 1
; COMPUTE_PGM_RSRC2:TGID_Z_EN: 1
; COMPUTE_PGM_RSRC2:TIDIG_COMP_CNT: 0
	.section	.text._ZN9rocsparse31csrmmnn_row_split_shared_kernelILj256ELj8EdlidddEEvNS_24const_host_device_scalarIT1_EES3_bbbT3_S4_llPKT2_PKS4_PKT4_PKT5_llPT6_ll16rocsparse_order_21rocsparse_index_base_,"axG",@progbits,_ZN9rocsparse31csrmmnn_row_split_shared_kernelILj256ELj8EdlidddEEvNS_24const_host_device_scalarIT1_EES3_bbbT3_S4_llPKT2_PKS4_PKT4_PKT5_llPT6_ll16rocsparse_order_21rocsparse_index_base_,comdat
	.protected	_ZN9rocsparse31csrmmnn_row_split_shared_kernelILj256ELj8EdlidddEEvNS_24const_host_device_scalarIT1_EES3_bbbT3_S4_llPKT2_PKS4_PKT4_PKT5_llPT6_ll16rocsparse_order_21rocsparse_index_base_ ; -- Begin function _ZN9rocsparse31csrmmnn_row_split_shared_kernelILj256ELj8EdlidddEEvNS_24const_host_device_scalarIT1_EES3_bbbT3_S4_llPKT2_PKS4_PKT4_PKT5_llPT6_ll16rocsparse_order_21rocsparse_index_base_
	.globl	_ZN9rocsparse31csrmmnn_row_split_shared_kernelILj256ELj8EdlidddEEvNS_24const_host_device_scalarIT1_EES3_bbbT3_S4_llPKT2_PKS4_PKT4_PKT5_llPT6_ll16rocsparse_order_21rocsparse_index_base_
	.p2align	8
	.type	_ZN9rocsparse31csrmmnn_row_split_shared_kernelILj256ELj8EdlidddEEvNS_24const_host_device_scalarIT1_EES3_bbbT3_S4_llPKT2_PKS4_PKT4_PKT5_llPT6_ll16rocsparse_order_21rocsparse_index_base_,@function
_ZN9rocsparse31csrmmnn_row_split_shared_kernelILj256ELj8EdlidddEEvNS_24const_host_device_scalarIT1_EES3_bbbT3_S4_llPKT2_PKS4_PKT4_PKT5_llPT6_ll16rocsparse_order_21rocsparse_index_base_: ; @_ZN9rocsparse31csrmmnn_row_split_shared_kernelILj256ELj8EdlidddEEvNS_24const_host_device_scalarIT1_EES3_bbbT3_S4_llPKT2_PKS4_PKT4_PKT5_llPT6_ll16rocsparse_order_21rocsparse_index_base_
; %bb.0:
	s_load_dwordx8 s[24:31], s[4:5], 0x0
	s_waitcnt lgkmcnt(0)
	s_bitcmp1_b32 s28, 0
	v_mov_b32_e32 v9, s24
	v_mov_b32_e32 v10, s25
	s_cselect_b32 s0, -1, 0
	s_and_b32 vcc_lo, exec_lo, s0
	s_xor_b32 s0, s0, -1
	s_cbranch_vccnz .LBB4_2
; %bb.1:
	v_mov_b32_e32 v1, s24
	v_mov_b32_e32 v2, s25
	flat_load_dwordx2 v[9:10], v[1:2]
.LBB4_2:
	v_mov_b32_e32 v5, s26
	v_mov_b32_e32 v6, s27
	s_andn2_b32 vcc_lo, exec_lo, s0
	s_cbranch_vccnz .LBB4_4
; %bb.3:
	v_mov_b32_e32 v1, s26
	v_mov_b32_e32 v2, s27
	flat_load_dwordx2 v[5:6], v[1:2]
.LBB4_4:
	s_waitcnt vmcnt(0) lgkmcnt(0)
	v_cmp_neq_f64_e32 vcc_lo, 0, v[9:10]
	v_cmp_neq_f64_e64 s0, 1.0, v[5:6]
	s_or_b32 s0, vcc_lo, s0
	s_and_saveexec_b32 s1, s0
	s_cbranch_execz .LBB4_25
; %bb.5:
	v_lshl_or_b32 v1, s6, 8, v0
	v_lshrrev_b32_e32 v20, 3, v1
	v_cmp_gt_i32_e32 vcc_lo, s29, v20
	s_and_b32 exec_lo, exec_lo, vcc_lo
	s_cbranch_execz .LBB4_25
; %bb.6:
	s_load_dwordx16 s[12:27], s[4:5], 0x20
	s_ashr_i32 s6, s8, 31
	v_lshlrev_b32_e32 v19, 3, v20
	s_load_dwordx2 s[10:11], s[4:5], 0x78
	v_and_b32_e32 v21, 7, v0
	v_mov_b32_e32 v13, 0
	v_mov_b32_e32 v14, 0
	v_lshl_or_b32 v7, s7, 3, v21
	v_ashrrev_i32_e32 v8, 31, v7
	s_waitcnt lgkmcnt(0)
	s_mul_hi_u32 s0, s12, s8
	s_mul_i32 s1, s12, s6
	s_mul_i32 s2, s13, s8
	s_add_i32 s1, s0, s1
	s_mul_i32 s0, s12, s8
	s_add_i32 s1, s1, s2
	s_mov_b32 s2, exec_lo
	s_lshl_b64 s[0:1], s[0:1], 3
	s_add_u32 s0, s16, s0
	s_addc_u32 s1, s17, s1
	global_load_dwordx4 v[1:4], v19, s[0:1]
	s_waitcnt vmcnt(0)
	v_cmpx_lt_i64_e64 v[1:2], v[3:4]
	s_cbranch_execz .LBB4_14
; %bb.7:
	v_lshrrev_b32_e32 v0, 3, v0
	v_sub_co_u32 v3, vcc_lo, v3, s11
	v_mul_lo_u32 v15, s25, v7
	v_mul_lo_u32 v16, s24, v8
	v_mad_u64_u32 v[13:14], null, s24, v7, 0
	v_subrev_co_ci_u32_e64 v4, null, 0, v4, vcc_lo
	v_lshl_or_b32 v22, v0, 5, 0x800
	v_lshlrev_b32_e32 v23, 6, v0
	v_sub_co_u32 v11, vcc_lo, v1, s11
	v_mad_u64_u32 v[0:1], null, s14, s8, v[1:2]
	s_mul_i32 s3, s15, s8
	s_mul_i32 s7, s14, s6
	;; [unrolled: 1-line block ×3, first 2 shown]
	s_mul_hi_u32 s1, s26, s8
	v_add3_u32 v14, v14, v16, v15
	s_add_i32 s0, s1, s0
	v_add3_u32 v1, s7, s3, v1
	s_mul_i32 s1, s27, s8
	v_subrev_co_ci_u32_e64 v12, null, 0, v2, vcc_lo
	s_add_i32 s13, s0, s1
	v_add_co_u32 v2, s0, v0, v21
	v_add_co_ci_u32_e64 v15, null, 0, v1, s0
	v_lshlrev_b64 v[0:1], 3, v[13:14]
	v_sub_co_u32 v13, s0, v2, s11
	v_subrev_co_ci_u32_e64 v14, null, 0, v15, s0
	s_mul_i32 s12, s26, s8
	v_add_co_u32 v2, s0, s22, v0
	v_add_co_ci_u32_e64 v15, null, s23, v1, s0
	s_lshl_b64 s[0:1], s[12:13], 3
	v_lshlrev_b64 v[0:1], 2, v[13:14]
	v_add_co_u32 v2, s0, v2, s0
	v_add_co_ci_u32_e64 v26, null, s1, v15, s0
	v_lshlrev_b64 v[15:16], 3, v[13:14]
	v_add_co_u32 v0, s0, s18, v0
	v_add_co_ci_u32_e64 v1, null, s19, v1, s0
	v_mov_b32_e32 v13, 0
	v_add_co_u32 v15, s0, s20, v15
	v_lshl_or_b32 v24, v21, 2, v22
	v_lshl_or_b32 v25, v21, 3, v23
	v_mov_b32_e32 v14, 0
	v_add_co_ci_u32_e64 v16, null, s21, v16, s0
	s_mov_b32 s3, 0
	v_cmp_gt_i32_e32 vcc_lo, s30, v7
	s_branch .LBB4_9
.LBB4_8:                                ;   in Loop: Header=BB4_9 Depth=1
	s_or_b32 exec_lo, exec_lo, s1
	v_add_co_u32 v11, s0, v11, 8
	v_add_co_ci_u32_e64 v12, null, 0, v12, s0
	v_add_co_u32 v0, s0, v0, 32
	v_add_co_ci_u32_e64 v1, null, 0, v1, s0
	v_cmp_ge_i64_e64 s0, v[11:12], v[3:4]
	v_add_co_u32 v15, s1, v15, 64
	v_add_co_ci_u32_e64 v16, null, 0, v16, s1
	s_or_b32 s3, s0, s3
	s_andn2_b32 exec_lo, exec_lo, s3
	s_cbranch_execz .LBB4_13
.LBB4_9:                                ; =>This Inner Loop Header: Depth=1
	v_add_co_u32 v17, s0, v21, v11
	v_add_co_ci_u32_e64 v18, null, 0, v12, s0
	v_mov_b32_e32 v27, 0
	s_barrier
	v_cmp_lt_i64_e64 s0, v[17:18], v[3:4]
	v_mov_b32_e32 v17, 0
	v_mov_b32_e32 v18, 0
	buffer_gl0_inv
	s_and_saveexec_b32 s1, s0
	s_cbranch_execz .LBB4_11
; %bb.10:                               ;   in Loop: Header=BB4_9 Depth=1
	global_load_dword v27, v[0:1], off
	global_load_dwordx2 v[17:18], v[15:16], off
	s_waitcnt vmcnt(1)
	v_subrev_nc_u32_e32 v27, s11, v27
.LBB4_11:                               ;   in Loop: Header=BB4_9 Depth=1
	s_or_b32 exec_lo, exec_lo, s1
	ds_write_b32 v24, v27
	s_waitcnt vmcnt(0)
	ds_write_b64 v25, v[17:18]
	s_waitcnt lgkmcnt(0)
	s_barrier
	buffer_gl0_inv
	s_and_saveexec_b32 s1, vcc_lo
	s_cbranch_execz .LBB4_8
; %bb.12:                               ;   in Loop: Header=BB4_9 Depth=1
	ds_read_b128 v[27:30], v22
	ds_read_b128 v[31:34], v22 offset:16
	s_waitcnt lgkmcnt(1)
	v_ashrrev_i32_e32 v18, 31, v27
	v_mov_b32_e32 v17, v27
	v_ashrrev_i32_e32 v36, 31, v28
	v_mov_b32_e32 v35, v28
	v_lshlrev_b64 v[17:18], 3, v[17:18]
	v_lshlrev_b64 v[27:28], 3, v[35:36]
	v_add_co_u32 v17, s0, v2, v17
	v_add_co_ci_u32_e64 v18, null, v26, v18, s0
	v_add_co_u32 v27, s0, v2, v27
	v_add_co_ci_u32_e64 v28, null, v26, v28, s0
	s_clause 0x1
	global_load_dwordx2 v[17:18], v[17:18], off
	global_load_dwordx2 v[35:36], v[27:28], off
	v_ashrrev_i32_e32 v28, 31, v29
	v_mov_b32_e32 v27, v29
	v_lshlrev_b64 v[27:28], 3, v[27:28]
	v_add_co_u32 v27, s0, v2, v27
	v_add_co_ci_u32_e64 v28, null, v26, v28, s0
	global_load_dwordx2 v[37:38], v[27:28], off
	v_ashrrev_i32_e32 v28, 31, v30
	v_mov_b32_e32 v27, v30
	v_lshlrev_b64 v[27:28], 3, v[27:28]
	v_add_co_u32 v27, s0, v2, v27
	v_add_co_ci_u32_e64 v28, null, v26, v28, s0
	global_load_dwordx2 v[39:40], v[27:28], off
	s_waitcnt lgkmcnt(0)
	v_ashrrev_i32_e32 v28, 31, v31
	v_mov_b32_e32 v27, v31
	v_lshlrev_b64 v[27:28], 3, v[27:28]
	v_add_co_u32 v27, s0, v2, v27
	v_add_co_ci_u32_e64 v28, null, v26, v28, s0
	global_load_dwordx2 v[41:42], v[27:28], off
	v_ashrrev_i32_e32 v28, 31, v32
	v_mov_b32_e32 v27, v32
	v_lshlrev_b64 v[27:28], 3, v[27:28]
	v_add_co_u32 v27, s0, v2, v27
	v_add_co_ci_u32_e64 v28, null, v26, v28, s0
	global_load_dwordx2 v[43:44], v[27:28], off
	;; [unrolled: 6-line block ×4, first 2 shown]
	ds_read_b128 v[27:30], v23
	ds_read_b128 v[31:34], v23 offset:16
	s_waitcnt vmcnt(7) lgkmcnt(1)
	v_fma_f64 v[13:14], v[27:28], v[17:18], v[13:14]
	s_waitcnt vmcnt(6)
	v_fma_f64 v[13:14], v[29:30], v[35:36], v[13:14]
	s_waitcnt vmcnt(5) lgkmcnt(0)
	v_fma_f64 v[13:14], v[31:32], v[37:38], v[13:14]
	s_waitcnt vmcnt(4)
	v_fma_f64 v[13:14], v[33:34], v[39:40], v[13:14]
	ds_read_b128 v[27:30], v23 offset:32
	ds_read_b128 v[31:34], v23 offset:48
	s_waitcnt vmcnt(3) lgkmcnt(1)
	v_fma_f64 v[13:14], v[27:28], v[41:42], v[13:14]
	s_waitcnt vmcnt(2)
	v_fma_f64 v[13:14], v[29:30], v[43:44], v[13:14]
	s_waitcnt vmcnt(1) lgkmcnt(0)
	v_fma_f64 v[13:14], v[31:32], v[45:46], v[13:14]
	s_waitcnt vmcnt(0)
	v_fma_f64 v[13:14], v[33:34], v[47:48], v[13:14]
	s_branch .LBB4_8
.LBB4_13:
	s_or_b32 exec_lo, exec_lo, s3
.LBB4_14:
	s_or_b32 exec_lo, exec_lo, s2
	v_cmp_gt_i32_e32 vcc_lo, s30, v7
	s_and_b32 exec_lo, exec_lo, vcc_lo
	s_cbranch_execz .LBB4_25
; %bb.15:
	s_clause 0x1
	s_load_dwordx2 s[12:13], s[4:5], 0x70
	s_load_dwordx4 s[0:3], s[4:5], 0x60
	v_mul_f64 v[0:1], v[9:10], v[13:14]
	s_cmp_lg_u32 s10, 1
	s_mov_b32 s5, exec_lo
	s_cselect_b32 s7, -1, 0
	s_waitcnt lgkmcnt(0)
	s_mul_i32 s9, s12, s6
	s_mul_hi_u32 s10, s12, s8
	s_mul_i32 s6, s13, s8
	s_mul_i32 s4, s12, s8
	v_cmpx_neq_f64_e32 0, v[5:6]
	s_xor_b32 s8, exec_lo, s5
	s_cbranch_execz .LBB4_20
; %bb.16:
	s_add_i32 s5, s10, s9
	s_and_b32 vcc_lo, exec_lo, s7
	s_add_i32 s5, s5, s6
	s_mov_b32 s11, -1
	s_cbranch_vccz .LBB4_18
; %bb.17:
	v_mad_u64_u32 v[2:3], null, s2, v20, 0
	v_lshlrev_b64 v[9:10], 3, v[7:8]
	s_lshl_b64 s[12:13], s[4:5], 3
	s_mov_b32 s11, 0
	v_mad_u64_u32 v[3:4], null, s3, v20, v[3:4]
	v_lshlrev_b64 v[2:3], 3, v[2:3]
	v_add_co_u32 v2, vcc_lo, s0, v2
	v_add_co_ci_u32_e64 v3, null, s1, v3, vcc_lo
	v_add_co_u32 v2, vcc_lo, v2, v9
	v_add_co_ci_u32_e64 v3, null, v3, v10, vcc_lo
	;; [unrolled: 2-line block ×3, first 2 shown]
	global_load_dwordx2 v[9:10], v[2:3], off
	s_waitcnt vmcnt(0)
	v_fma_f64 v[9:10], v[5:6], v[9:10], v[0:1]
	global_store_dwordx2 v[2:3], v[9:10], off
.LBB4_18:
	s_andn2_b32 vcc_lo, exec_lo, s11
                                        ; implicit-def: $vgpr20
	s_cbranch_vccnz .LBB4_20
; %bb.19:
	v_mul_lo_u32 v4, s3, v7
	v_mul_lo_u32 v8, s2, v8
	v_mad_u64_u32 v[2:3], null, s2, v7, 0
	s_lshl_b64 s[12:13], s[4:5], 3
                                        ; implicit-def: $vgpr20
	v_add3_u32 v3, v3, v8, v4
	v_lshlrev_b64 v[2:3], 3, v[2:3]
	v_add_co_u32 v2, vcc_lo, s0, v2
	v_add_co_ci_u32_e64 v3, null, s1, v3, vcc_lo
	v_add_co_u32 v2, vcc_lo, v2, v19
	v_add_co_ci_u32_e64 v3, null, 0, v3, vcc_lo
                                        ; implicit-def: $vgpr19
	v_add_co_u32 v2, vcc_lo, v2, s12
	v_add_co_ci_u32_e64 v3, null, s13, v3, vcc_lo
	global_load_dwordx2 v[7:8], v[2:3], off
	s_waitcnt vmcnt(0)
	v_fma_f64 v[0:1], v[5:6], v[7:8], v[0:1]
                                        ; implicit-def: $vgpr7_vgpr8
	global_store_dwordx2 v[2:3], v[0:1], off
                                        ; implicit-def: $vgpr0_vgpr1
.LBB4_20:
	s_andn2_saveexec_b32 s5, s8
	s_cbranch_execz .LBB4_25
; %bb.21:
	s_add_i32 s5, s10, s9
	s_and_b32 vcc_lo, exec_lo, s7
	s_add_i32 s5, s5, s6
	s_mov_b32 s6, -1
	s_cbranch_vccz .LBB4_23
; %bb.22:
	v_mad_u64_u32 v[2:3], null, s2, v20, 0
	s_lshl_b64 s[6:7], s[4:5], 3
	v_mad_u64_u32 v[3:4], null, s3, v20, v[3:4]
	v_lshlrev_b64 v[4:5], 3, v[7:8]
	v_lshlrev_b64 v[2:3], 3, v[2:3]
	v_add_co_u32 v2, vcc_lo, s0, v2
	v_add_co_ci_u32_e64 v3, null, s1, v3, vcc_lo
	v_add_co_u32 v2, vcc_lo, v2, v4
	v_add_co_ci_u32_e64 v3, null, v3, v5, vcc_lo
	;; [unrolled: 2-line block ×3, first 2 shown]
	s_mov_b32 s6, 0
	global_store_dwordx2 v[2:3], v[0:1], off
.LBB4_23:
	s_andn2_b32 vcc_lo, exec_lo, s6
	s_cbranch_vccnz .LBB4_25
; %bb.24:
	v_mul_lo_u32 v4, s3, v7
	v_mul_lo_u32 v5, s2, v8
	v_mad_u64_u32 v[2:3], null, s2, v7, 0
	v_add3_u32 v3, v3, v5, v4
	v_lshlrev_b64 v[2:3], 3, v[2:3]
	v_add_co_u32 v2, vcc_lo, s0, v2
	v_add_co_ci_u32_e64 v3, null, s1, v3, vcc_lo
	s_lshl_b64 s[0:1], s[4:5], 3
	v_add_co_u32 v2, vcc_lo, v2, v19
	v_add_co_ci_u32_e64 v3, null, 0, v3, vcc_lo
	v_add_co_u32 v2, vcc_lo, v2, s0
	v_add_co_ci_u32_e64 v3, null, s1, v3, vcc_lo
	global_store_dwordx2 v[2:3], v[0:1], off
.LBB4_25:
	s_endpgm
	.section	.rodata,"a",@progbits
	.p2align	6, 0x0
	.amdhsa_kernel _ZN9rocsparse31csrmmnn_row_split_shared_kernelILj256ELj8EdlidddEEvNS_24const_host_device_scalarIT1_EES3_bbbT3_S4_llPKT2_PKS4_PKT4_PKT5_llPT6_ll16rocsparse_order_21rocsparse_index_base_
		.amdhsa_group_segment_fixed_size 3072
		.amdhsa_private_segment_fixed_size 0
		.amdhsa_kernarg_size 128
		.amdhsa_user_sgpr_count 6
		.amdhsa_user_sgpr_private_segment_buffer 1
		.amdhsa_user_sgpr_dispatch_ptr 0
		.amdhsa_user_sgpr_queue_ptr 0
		.amdhsa_user_sgpr_kernarg_segment_ptr 1
		.amdhsa_user_sgpr_dispatch_id 0
		.amdhsa_user_sgpr_flat_scratch_init 0
		.amdhsa_user_sgpr_private_segment_size 0
		.amdhsa_wavefront_size32 1
		.amdhsa_uses_dynamic_stack 0
		.amdhsa_system_sgpr_private_segment_wavefront_offset 0
		.amdhsa_system_sgpr_workgroup_id_x 1
		.amdhsa_system_sgpr_workgroup_id_y 1
		.amdhsa_system_sgpr_workgroup_id_z 1
		.amdhsa_system_sgpr_workgroup_info 0
		.amdhsa_system_vgpr_workitem_id 0
		.amdhsa_next_free_vgpr 49
		.amdhsa_next_free_sgpr 32
		.amdhsa_reserve_vcc 1
		.amdhsa_reserve_flat_scratch 0
		.amdhsa_float_round_mode_32 0
		.amdhsa_float_round_mode_16_64 0
		.amdhsa_float_denorm_mode_32 3
		.amdhsa_float_denorm_mode_16_64 3
		.amdhsa_dx10_clamp 1
		.amdhsa_ieee_mode 1
		.amdhsa_fp16_overflow 0
		.amdhsa_workgroup_processor_mode 1
		.amdhsa_memory_ordered 1
		.amdhsa_forward_progress 1
		.amdhsa_shared_vgpr_count 0
		.amdhsa_exception_fp_ieee_invalid_op 0
		.amdhsa_exception_fp_denorm_src 0
		.amdhsa_exception_fp_ieee_div_zero 0
		.amdhsa_exception_fp_ieee_overflow 0
		.amdhsa_exception_fp_ieee_underflow 0
		.amdhsa_exception_fp_ieee_inexact 0
		.amdhsa_exception_int_div_zero 0
	.end_amdhsa_kernel
	.section	.text._ZN9rocsparse31csrmmnn_row_split_shared_kernelILj256ELj8EdlidddEEvNS_24const_host_device_scalarIT1_EES3_bbbT3_S4_llPKT2_PKS4_PKT4_PKT5_llPT6_ll16rocsparse_order_21rocsparse_index_base_,"axG",@progbits,_ZN9rocsparse31csrmmnn_row_split_shared_kernelILj256ELj8EdlidddEEvNS_24const_host_device_scalarIT1_EES3_bbbT3_S4_llPKT2_PKS4_PKT4_PKT5_llPT6_ll16rocsparse_order_21rocsparse_index_base_,comdat
.Lfunc_end4:
	.size	_ZN9rocsparse31csrmmnn_row_split_shared_kernelILj256ELj8EdlidddEEvNS_24const_host_device_scalarIT1_EES3_bbbT3_S4_llPKT2_PKS4_PKT4_PKT5_llPT6_ll16rocsparse_order_21rocsparse_index_base_, .Lfunc_end4-_ZN9rocsparse31csrmmnn_row_split_shared_kernelILj256ELj8EdlidddEEvNS_24const_host_device_scalarIT1_EES3_bbbT3_S4_llPKT2_PKS4_PKT4_PKT5_llPT6_ll16rocsparse_order_21rocsparse_index_base_
                                        ; -- End function
	.set _ZN9rocsparse31csrmmnn_row_split_shared_kernelILj256ELj8EdlidddEEvNS_24const_host_device_scalarIT1_EES3_bbbT3_S4_llPKT2_PKS4_PKT4_PKT5_llPT6_ll16rocsparse_order_21rocsparse_index_base_.num_vgpr, 49
	.set _ZN9rocsparse31csrmmnn_row_split_shared_kernelILj256ELj8EdlidddEEvNS_24const_host_device_scalarIT1_EES3_bbbT3_S4_llPKT2_PKS4_PKT4_PKT5_llPT6_ll16rocsparse_order_21rocsparse_index_base_.num_agpr, 0
	.set _ZN9rocsparse31csrmmnn_row_split_shared_kernelILj256ELj8EdlidddEEvNS_24const_host_device_scalarIT1_EES3_bbbT3_S4_llPKT2_PKS4_PKT4_PKT5_llPT6_ll16rocsparse_order_21rocsparse_index_base_.numbered_sgpr, 32
	.set _ZN9rocsparse31csrmmnn_row_split_shared_kernelILj256ELj8EdlidddEEvNS_24const_host_device_scalarIT1_EES3_bbbT3_S4_llPKT2_PKS4_PKT4_PKT5_llPT6_ll16rocsparse_order_21rocsparse_index_base_.num_named_barrier, 0
	.set _ZN9rocsparse31csrmmnn_row_split_shared_kernelILj256ELj8EdlidddEEvNS_24const_host_device_scalarIT1_EES3_bbbT3_S4_llPKT2_PKS4_PKT4_PKT5_llPT6_ll16rocsparse_order_21rocsparse_index_base_.private_seg_size, 0
	.set _ZN9rocsparse31csrmmnn_row_split_shared_kernelILj256ELj8EdlidddEEvNS_24const_host_device_scalarIT1_EES3_bbbT3_S4_llPKT2_PKS4_PKT4_PKT5_llPT6_ll16rocsparse_order_21rocsparse_index_base_.uses_vcc, 1
	.set _ZN9rocsparse31csrmmnn_row_split_shared_kernelILj256ELj8EdlidddEEvNS_24const_host_device_scalarIT1_EES3_bbbT3_S4_llPKT2_PKS4_PKT4_PKT5_llPT6_ll16rocsparse_order_21rocsparse_index_base_.uses_flat_scratch, 0
	.set _ZN9rocsparse31csrmmnn_row_split_shared_kernelILj256ELj8EdlidddEEvNS_24const_host_device_scalarIT1_EES3_bbbT3_S4_llPKT2_PKS4_PKT4_PKT5_llPT6_ll16rocsparse_order_21rocsparse_index_base_.has_dyn_sized_stack, 0
	.set _ZN9rocsparse31csrmmnn_row_split_shared_kernelILj256ELj8EdlidddEEvNS_24const_host_device_scalarIT1_EES3_bbbT3_S4_llPKT2_PKS4_PKT4_PKT5_llPT6_ll16rocsparse_order_21rocsparse_index_base_.has_recursion, 0
	.set _ZN9rocsparse31csrmmnn_row_split_shared_kernelILj256ELj8EdlidddEEvNS_24const_host_device_scalarIT1_EES3_bbbT3_S4_llPKT2_PKS4_PKT4_PKT5_llPT6_ll16rocsparse_order_21rocsparse_index_base_.has_indirect_call, 0
	.section	.AMDGPU.csdata,"",@progbits
; Kernel info:
; codeLenInByte = 1820
; TotalNumSgprs: 34
; NumVgprs: 49
; ScratchSize: 0
; MemoryBound: 0
; FloatMode: 240
; IeeeMode: 1
; LDSByteSize: 3072 bytes/workgroup (compile time only)
; SGPRBlocks: 0
; VGPRBlocks: 6
; NumSGPRsForWavesPerEU: 34
; NumVGPRsForWavesPerEU: 49
; Occupancy: 16
; WaveLimiterHint : 1
; COMPUTE_PGM_RSRC2:SCRATCH_EN: 0
; COMPUTE_PGM_RSRC2:USER_SGPR: 6
; COMPUTE_PGM_RSRC2:TRAP_HANDLER: 0
; COMPUTE_PGM_RSRC2:TGID_X_EN: 1
; COMPUTE_PGM_RSRC2:TGID_Y_EN: 1
; COMPUTE_PGM_RSRC2:TGID_Z_EN: 1
; COMPUTE_PGM_RSRC2:TIDIG_COMP_CNT: 0
	.section	.text._ZN9rocsparse31csrmmnn_row_split_shared_kernelILj256ELj8EdlldddEEvNS_24const_host_device_scalarIT1_EES3_bbbT3_S4_llPKT2_PKS4_PKT4_PKT5_llPT6_ll16rocsparse_order_21rocsparse_index_base_,"axG",@progbits,_ZN9rocsparse31csrmmnn_row_split_shared_kernelILj256ELj8EdlldddEEvNS_24const_host_device_scalarIT1_EES3_bbbT3_S4_llPKT2_PKS4_PKT4_PKT5_llPT6_ll16rocsparse_order_21rocsparse_index_base_,comdat
	.protected	_ZN9rocsparse31csrmmnn_row_split_shared_kernelILj256ELj8EdlldddEEvNS_24const_host_device_scalarIT1_EES3_bbbT3_S4_llPKT2_PKS4_PKT4_PKT5_llPT6_ll16rocsparse_order_21rocsparse_index_base_ ; -- Begin function _ZN9rocsparse31csrmmnn_row_split_shared_kernelILj256ELj8EdlldddEEvNS_24const_host_device_scalarIT1_EES3_bbbT3_S4_llPKT2_PKS4_PKT4_PKT5_llPT6_ll16rocsparse_order_21rocsparse_index_base_
	.globl	_ZN9rocsparse31csrmmnn_row_split_shared_kernelILj256ELj8EdlldddEEvNS_24const_host_device_scalarIT1_EES3_bbbT3_S4_llPKT2_PKS4_PKT4_PKT5_llPT6_ll16rocsparse_order_21rocsparse_index_base_
	.p2align	8
	.type	_ZN9rocsparse31csrmmnn_row_split_shared_kernelILj256ELj8EdlldddEEvNS_24const_host_device_scalarIT1_EES3_bbbT3_S4_llPKT2_PKS4_PKT4_PKT5_llPT6_ll16rocsparse_order_21rocsparse_index_base_,@function
_ZN9rocsparse31csrmmnn_row_split_shared_kernelILj256ELj8EdlldddEEvNS_24const_host_device_scalarIT1_EES3_bbbT3_S4_llPKT2_PKS4_PKT4_PKT5_llPT6_ll16rocsparse_order_21rocsparse_index_base_: ; @_ZN9rocsparse31csrmmnn_row_split_shared_kernelILj256ELj8EdlldddEEvNS_24const_host_device_scalarIT1_EES3_bbbT3_S4_llPKT2_PKS4_PKT4_PKT5_llPT6_ll16rocsparse_order_21rocsparse_index_base_
; %bb.0:
	s_clause 0x1
	s_load_dword s9, s[4:5], 0x10
	s_load_dwordx4 s[0:3], s[4:5], 0x0
	s_waitcnt lgkmcnt(0)
	s_bitcmp1_b32 s9, 0
	v_mov_b32_e32 v12, s1
	v_mov_b32_e32 v11, s0
	s_cselect_b32 s9, -1, 0
	s_and_b32 vcc_lo, exec_lo, s9
	s_xor_b32 s9, s9, -1
	s_cbranch_vccnz .LBB5_2
; %bb.1:
	v_mov_b32_e32 v2, s1
	v_mov_b32_e32 v1, s0
	flat_load_dwordx2 v[11:12], v[1:2]
.LBB5_2:
	v_mov_b32_e32 v6, s3
	v_mov_b32_e32 v5, s2
	s_andn2_b32 vcc_lo, exec_lo, s9
	s_cbranch_vccnz .LBB5_4
; %bb.3:
	v_mov_b32_e32 v1, s2
	v_mov_b32_e32 v2, s3
	flat_load_dwordx2 v[5:6], v[1:2]
.LBB5_4:
	s_waitcnt vmcnt(0) lgkmcnt(0)
	v_cmp_neq_f64_e32 vcc_lo, 0, v[11:12]
	v_cmp_neq_f64_e64 s0, 1.0, v[5:6]
	s_or_b32 s0, vcc_lo, s0
	s_and_saveexec_b32 s1, s0
	s_cbranch_execz .LBB5_25
; %bb.5:
	s_load_dwordx16 s[12:27], s[4:5], 0x18
	v_lshl_or_b32 v1, s6, 8, v0
	v_mov_b32_e32 v10, 0
	v_lshrrev_b32_e32 v9, 3, v1
	s_waitcnt lgkmcnt(0)
	v_cmp_gt_i64_e32 vcc_lo, s[12:13], v[9:10]
	s_and_b32 exec_lo, exec_lo, vcc_lo
	s_cbranch_execz .LBB5_25
; %bb.6:
	s_mul_i32 s0, s17, s8
	s_mul_hi_u32 s1, s16, s8
	v_lshlrev_b32_e32 v23, 3, v9
	s_add_i32 s1, s1, s0
	s_mul_i32 s0, s16, s8
	v_and_b32_e32 v24, 7, v0
	s_lshl_b64 s[0:1], s[0:1], 3
	v_mov_b32_e32 v13, 0
	s_add_u32 s0, s20, s0
	s_addc_u32 s1, s21, s1
	v_lshl_or_b32 v7, s7, 3, v24
	global_load_dwordx4 v[1:4], v23, s[0:1]
	s_clause 0x1
	s_load_dwordx8 s[36:43], s[4:5], 0x58
	s_load_dwordx4 s[28:31], s[4:5], 0x78
	v_mov_b32_e32 v14, 0
	v_mov_b32_e32 v8, v10
	s_mov_b32 s3, 0
	s_mov_b32 s2, exec_lo
	s_waitcnt vmcnt(0)
	v_cmpx_lt_i64_e64 v[1:2], v[3:4]
	s_cbranch_execz .LBB5_14
; %bb.7:
	s_waitcnt lgkmcnt(0)
	v_mad_u64_u32 v[13:14], null, s36, v7, 0
	v_lshlrev_b32_e32 v10, 3, v0
	v_mad_u64_u32 v[15:16], null, s18, s8, v[1:2]
	s_mul_i32 s0, s39, s8
	s_mul_hi_u32 s1, s38, s8
	v_and_b32_e32 v10, 0x7c0, v10
	v_mov_b32_e32 v0, v14
	s_add_i32 s5, s1, s0
	s_mul_i32 s4, s38, s8
	v_add_co_u32 v15, s0, v15, v24
	v_mad_u64_u32 v[17:18], null, s37, v7, v[0:1]
	v_lshlrev_b32_e32 v19, 3, v24
	v_or_b32_e32 v25, 0x800, v10
	v_sub_co_u32 v3, vcc_lo, v3, s31
	v_subrev_co_ci_u32_e64 v4, null, 0, v4, vcc_lo
	v_mov_b32_e32 v14, v17
	v_mad_u64_u32 v[16:17], null, s19, s8, v[16:17]
	v_sub_co_u32 v0, vcc_lo, v1, s31
	v_lshlrev_b64 v[13:14], 3, v[13:14]
	v_subrev_co_ci_u32_e64 v1, null, 0, v2, vcc_lo
	v_or_b32_e32 v2, v10, v19
	v_add_co_ci_u32_e64 v16, null, 0, v16, s0
	v_sub_co_u32 v15, s0, v15, s31
	v_or_b32_e32 v26, v25, v19
	v_subrev_co_ci_u32_e64 v16, null, 0, v16, s0
	v_add_co_u32 v13, s0, s26, v13
	v_add_co_ci_u32_e64 v14, null, s27, v14, s0
	v_lshlrev_b64 v[17:18], 3, v[15:16]
	s_lshl_b64 s[0:1], s[4:5], 3
	s_mov_b32 s4, s31
	v_add_co_u32 v27, s0, v13, s0
	v_add_co_ci_u32_e64 v28, null, s1, v14, s0
	v_add_co_u32 v15, s0, s22, v17
	v_add_co_ci_u32_e64 v16, null, s23, v18, s0
	v_add_co_u32 v17, s0, s24, v17
	v_mov_b32_e32 v13, 0
	v_mov_b32_e32 v14, 0
	v_add_co_ci_u32_e64 v18, null, s25, v18, s0
	v_cmp_gt_i64_e32 vcc_lo, s[14:15], v[7:8]
	s_branch .LBB5_9
.LBB5_8:                                ;   in Loop: Header=BB5_9 Depth=1
	s_or_b32 exec_lo, exec_lo, s1
	v_add_co_u32 v0, s0, v0, 8
	v_add_co_ci_u32_e64 v1, null, 0, v1, s0
	v_add_co_u32 v15, s0, v15, 64
	v_add_co_ci_u32_e64 v16, null, 0, v16, s0
	v_cmp_ge_i64_e64 s0, v[0:1], v[3:4]
	v_add_co_u32 v17, s1, v17, 64
	v_add_co_ci_u32_e64 v18, null, 0, v18, s1
	s_or_b32 s3, s0, s3
	s_andn2_b32 exec_lo, exec_lo, s3
	s_cbranch_execz .LBB5_13
.LBB5_9:                                ; =>This Inner Loop Header: Depth=1
	v_add_co_u32 v21, s0, v24, v0
	v_add_co_ci_u32_e64 v22, null, 0, v1, s0
	v_mov_b32_e32 v19, 0
	v_mov_b32_e32 v20, 0
	v_cmp_lt_i64_e64 s0, v[21:22], v[3:4]
	v_mov_b32_e32 v21, 0
	v_mov_b32_e32 v22, 0
	s_barrier
	buffer_gl0_inv
	s_and_saveexec_b32 s1, s0
	s_cbranch_execz .LBB5_11
; %bb.10:                               ;   in Loop: Header=BB5_9 Depth=1
	global_load_dwordx2 v[19:20], v[15:16], off
	global_load_dwordx2 v[21:22], v[17:18], off
	s_waitcnt vmcnt(1)
	v_sub_co_u32 v19, s0, v19, s4
	v_subrev_co_ci_u32_e64 v20, null, 0, v20, s0
.LBB5_11:                               ;   in Loop: Header=BB5_9 Depth=1
	s_or_b32 exec_lo, exec_lo, s1
	ds_write_b64 v2, v[19:20]
	s_waitcnt vmcnt(0)
	ds_write_b64 v26, v[21:22]
	s_waitcnt lgkmcnt(0)
	s_barrier
	buffer_gl0_inv
	s_and_saveexec_b32 s1, vcc_lo
	s_cbranch_execz .LBB5_8
; %bb.12:                               ;   in Loop: Header=BB5_9 Depth=1
	ds_read_b128 v[19:22], v10
	ds_read_b128 v[29:32], v10 offset:16
	s_waitcnt lgkmcnt(1)
	v_lshlrev_b64 v[19:20], 3, v[19:20]
	v_add_co_u32 v19, s0, v27, v19
	v_add_co_ci_u32_e64 v20, null, v28, v20, s0
	global_load_dwordx2 v[33:34], v[19:20], off
	v_lshlrev_b64 v[19:20], 3, v[21:22]
	v_add_co_u32 v19, s0, v27, v19
	v_add_co_ci_u32_e64 v20, null, v28, v20, s0
	global_load_dwordx2 v[35:36], v[19:20], off
	s_waitcnt lgkmcnt(0)
	v_lshlrev_b64 v[19:20], 3, v[29:30]
	v_lshlrev_b64 v[29:30], 3, v[31:32]
	v_add_co_u32 v19, s0, v27, v19
	v_add_co_ci_u32_e64 v20, null, v28, v20, s0
	v_add_co_u32 v29, s0, v27, v29
	v_add_co_ci_u32_e64 v30, null, v28, v30, s0
	s_clause 0x1
	global_load_dwordx2 v[37:38], v[19:20], off
	global_load_dwordx2 v[39:40], v[29:30], off
	ds_read_b128 v[19:22], v10 offset:32
	ds_read_b128 v[29:32], v10 offset:48
	s_waitcnt lgkmcnt(1)
	v_lshlrev_b64 v[19:20], 3, v[19:20]
	v_add_co_u32 v19, s0, v27, v19
	v_add_co_ci_u32_e64 v20, null, v28, v20, s0
	global_load_dwordx2 v[41:42], v[19:20], off
	v_lshlrev_b64 v[19:20], 3, v[21:22]
	v_add_co_u32 v19, s0, v27, v19
	v_add_co_ci_u32_e64 v20, null, v28, v20, s0
	global_load_dwordx2 v[43:44], v[19:20], off
	s_waitcnt lgkmcnt(0)
	v_lshlrev_b64 v[19:20], 3, v[29:30]
	v_add_co_u32 v19, s0, v27, v19
	v_add_co_ci_u32_e64 v20, null, v28, v20, s0
	global_load_dwordx2 v[45:46], v[19:20], off
	v_lshlrev_b64 v[19:20], 3, v[31:32]
	v_add_co_u32 v19, s0, v27, v19
	v_add_co_ci_u32_e64 v20, null, v28, v20, s0
	global_load_dwordx2 v[47:48], v[19:20], off
	ds_read_b128 v[19:22], v25
	ds_read_b128 v[29:32], v25 offset:16
	s_waitcnt vmcnt(7) lgkmcnt(1)
	v_fma_f64 v[13:14], v[19:20], v[33:34], v[13:14]
	s_waitcnt vmcnt(6)
	v_fma_f64 v[13:14], v[21:22], v[35:36], v[13:14]
	s_waitcnt vmcnt(5) lgkmcnt(0)
	v_fma_f64 v[13:14], v[29:30], v[37:38], v[13:14]
	s_waitcnt vmcnt(4)
	v_fma_f64 v[13:14], v[31:32], v[39:40], v[13:14]
	ds_read_b128 v[19:22], v25 offset:32
	ds_read_b128 v[29:32], v25 offset:48
	s_waitcnt vmcnt(3) lgkmcnt(1)
	v_fma_f64 v[13:14], v[19:20], v[41:42], v[13:14]
	s_waitcnt vmcnt(2)
	v_fma_f64 v[13:14], v[21:22], v[43:44], v[13:14]
	s_waitcnt vmcnt(1) lgkmcnt(0)
	v_fma_f64 v[13:14], v[29:30], v[45:46], v[13:14]
	s_waitcnt vmcnt(0)
	v_fma_f64 v[13:14], v[31:32], v[47:48], v[13:14]
	s_branch .LBB5_8
.LBB5_13:
	s_or_b32 exec_lo, exec_lo, s3
.LBB5_14:
	s_or_b32 exec_lo, exec_lo, s2
	v_cmp_gt_i64_e32 vcc_lo, s[14:15], v[7:8]
	s_and_b32 exec_lo, exec_lo, vcc_lo
	s_cbranch_execz .LBB5_25
; %bb.15:
	v_mul_f64 v[0:1], v[11:12], v[13:14]
	s_waitcnt lgkmcnt(0)
	s_cmp_lg_u32 s30, 1
	s_mul_i32 s3, s29, s8
	s_cselect_b32 s2, -1, 0
	s_mul_hi_u32 s4, s28, s8
	s_mul_i32 s0, s28, s8
	s_mov_b32 s1, exec_lo
	v_cmpx_neq_f64_e32 0, v[5:6]
	s_xor_b32 s5, exec_lo, s1
	s_cbranch_execz .LBB5_20
; %bb.16:
	s_add_i32 s1, s4, s3
	s_and_b32 vcc_lo, exec_lo, s2
	s_mov_b32 s6, -1
	s_cbranch_vccz .LBB5_18
; %bb.17:
	v_mad_u64_u32 v[2:3], null, s42, v9, 0
	s_lshl_b64 s[6:7], s[0:1], 3
	v_mad_u64_u32 v[3:4], null, s43, v9, v[3:4]
	v_lshlrev_b64 v[8:9], 3, v[7:8]
	v_lshlrev_b64 v[2:3], 3, v[2:3]
	v_add_co_u32 v2, vcc_lo, s40, v2
	v_add_co_ci_u32_e64 v3, null, s41, v3, vcc_lo
	v_add_co_u32 v2, vcc_lo, v2, v8
	v_add_co_ci_u32_e64 v3, null, v3, v9, vcc_lo
	;; [unrolled: 2-line block ×3, first 2 shown]
	s_mov_b32 s6, 0
	global_load_dwordx2 v[8:9], v[2:3], off
	s_waitcnt vmcnt(0)
	v_fma_f64 v[8:9], v[5:6], v[8:9], v[0:1]
	global_store_dwordx2 v[2:3], v[8:9], off
.LBB5_18:
	s_andn2_b32 vcc_lo, exec_lo, s6
                                        ; implicit-def: $vgpr9_vgpr10
	s_cbranch_vccnz .LBB5_20
; %bb.19:
	v_mad_u64_u32 v[2:3], null, s42, v7, 0
	s_lshl_b64 s[6:7], s[0:1], 3
                                        ; implicit-def: $vgpr9_vgpr10
	v_mad_u64_u32 v[3:4], null, s43, v7, v[3:4]
	v_lshlrev_b64 v[2:3], 3, v[2:3]
	v_add_co_u32 v2, vcc_lo, s40, v2
	v_add_co_ci_u32_e64 v3, null, s41, v3, vcc_lo
	v_add_co_u32 v2, vcc_lo, v2, v23
	v_add_co_ci_u32_e64 v3, null, 0, v3, vcc_lo
                                        ; implicit-def: $vgpr23
	v_add_co_u32 v2, vcc_lo, v2, s6
	v_add_co_ci_u32_e64 v3, null, s7, v3, vcc_lo
	global_load_dwordx2 v[7:8], v[2:3], off
	s_waitcnt vmcnt(0)
	v_fma_f64 v[0:1], v[5:6], v[7:8], v[0:1]
                                        ; implicit-def: $vgpr7_vgpr8
	global_store_dwordx2 v[2:3], v[0:1], off
                                        ; implicit-def: $vgpr0_vgpr1
.LBB5_20:
	s_andn2_saveexec_b32 s1, s5
	s_cbranch_execz .LBB5_25
; %bb.21:
	s_add_i32 s1, s4, s3
	s_and_b32 vcc_lo, exec_lo, s2
	s_mov_b32 s2, -1
	s_cbranch_vccz .LBB5_23
; %bb.22:
	v_mad_u64_u32 v[2:3], null, s42, v9, 0
	s_lshl_b64 s[2:3], s[0:1], 3
	v_mad_u64_u32 v[3:4], null, s43, v9, v[3:4]
	v_lshlrev_b64 v[4:5], 3, v[7:8]
	v_lshlrev_b64 v[2:3], 3, v[2:3]
	v_add_co_u32 v2, vcc_lo, s40, v2
	v_add_co_ci_u32_e64 v3, null, s41, v3, vcc_lo
	v_add_co_u32 v2, vcc_lo, v2, v4
	v_add_co_ci_u32_e64 v3, null, v3, v5, vcc_lo
	;; [unrolled: 2-line block ×3, first 2 shown]
	s_mov_b32 s2, 0
	global_store_dwordx2 v[2:3], v[0:1], off
.LBB5_23:
	s_andn2_b32 vcc_lo, exec_lo, s2
	s_cbranch_vccnz .LBB5_25
; %bb.24:
	v_mad_u64_u32 v[2:3], null, s42, v7, 0
	s_lshl_b64 s[0:1], s[0:1], 3
	v_mad_u64_u32 v[3:4], null, s43, v7, v[3:4]
	v_lshlrev_b64 v[2:3], 3, v[2:3]
	v_add_co_u32 v2, vcc_lo, s40, v2
	v_add_co_ci_u32_e64 v3, null, s41, v3, vcc_lo
	v_add_co_u32 v2, vcc_lo, v2, v23
	v_add_co_ci_u32_e64 v3, null, 0, v3, vcc_lo
	;; [unrolled: 2-line block ×3, first 2 shown]
	global_store_dwordx2 v[2:3], v[0:1], off
.LBB5_25:
	s_endpgm
	.section	.rodata,"a",@progbits
	.p2align	6, 0x0
	.amdhsa_kernel _ZN9rocsparse31csrmmnn_row_split_shared_kernelILj256ELj8EdlldddEEvNS_24const_host_device_scalarIT1_EES3_bbbT3_S4_llPKT2_PKS4_PKT4_PKT5_llPT6_ll16rocsparse_order_21rocsparse_index_base_
		.amdhsa_group_segment_fixed_size 4096
		.amdhsa_private_segment_fixed_size 0
		.amdhsa_kernarg_size 136
		.amdhsa_user_sgpr_count 6
		.amdhsa_user_sgpr_private_segment_buffer 1
		.amdhsa_user_sgpr_dispatch_ptr 0
		.amdhsa_user_sgpr_queue_ptr 0
		.amdhsa_user_sgpr_kernarg_segment_ptr 1
		.amdhsa_user_sgpr_dispatch_id 0
		.amdhsa_user_sgpr_flat_scratch_init 0
		.amdhsa_user_sgpr_private_segment_size 0
		.amdhsa_wavefront_size32 1
		.amdhsa_uses_dynamic_stack 0
		.amdhsa_system_sgpr_private_segment_wavefront_offset 0
		.amdhsa_system_sgpr_workgroup_id_x 1
		.amdhsa_system_sgpr_workgroup_id_y 1
		.amdhsa_system_sgpr_workgroup_id_z 1
		.amdhsa_system_sgpr_workgroup_info 0
		.amdhsa_system_vgpr_workitem_id 0
		.amdhsa_next_free_vgpr 49
		.amdhsa_next_free_sgpr 44
		.amdhsa_reserve_vcc 1
		.amdhsa_reserve_flat_scratch 0
		.amdhsa_float_round_mode_32 0
		.amdhsa_float_round_mode_16_64 0
		.amdhsa_float_denorm_mode_32 3
		.amdhsa_float_denorm_mode_16_64 3
		.amdhsa_dx10_clamp 1
		.amdhsa_ieee_mode 1
		.amdhsa_fp16_overflow 0
		.amdhsa_workgroup_processor_mode 1
		.amdhsa_memory_ordered 1
		.amdhsa_forward_progress 1
		.amdhsa_shared_vgpr_count 0
		.amdhsa_exception_fp_ieee_invalid_op 0
		.amdhsa_exception_fp_denorm_src 0
		.amdhsa_exception_fp_ieee_div_zero 0
		.amdhsa_exception_fp_ieee_overflow 0
		.amdhsa_exception_fp_ieee_underflow 0
		.amdhsa_exception_fp_ieee_inexact 0
		.amdhsa_exception_int_div_zero 0
	.end_amdhsa_kernel
	.section	.text._ZN9rocsparse31csrmmnn_row_split_shared_kernelILj256ELj8EdlldddEEvNS_24const_host_device_scalarIT1_EES3_bbbT3_S4_llPKT2_PKS4_PKT4_PKT5_llPT6_ll16rocsparse_order_21rocsparse_index_base_,"axG",@progbits,_ZN9rocsparse31csrmmnn_row_split_shared_kernelILj256ELj8EdlldddEEvNS_24const_host_device_scalarIT1_EES3_bbbT3_S4_llPKT2_PKS4_PKT4_PKT5_llPT6_ll16rocsparse_order_21rocsparse_index_base_,comdat
.Lfunc_end5:
	.size	_ZN9rocsparse31csrmmnn_row_split_shared_kernelILj256ELj8EdlldddEEvNS_24const_host_device_scalarIT1_EES3_bbbT3_S4_llPKT2_PKS4_PKT4_PKT5_llPT6_ll16rocsparse_order_21rocsparse_index_base_, .Lfunc_end5-_ZN9rocsparse31csrmmnn_row_split_shared_kernelILj256ELj8EdlldddEEvNS_24const_host_device_scalarIT1_EES3_bbbT3_S4_llPKT2_PKS4_PKT4_PKT5_llPT6_ll16rocsparse_order_21rocsparse_index_base_
                                        ; -- End function
	.set _ZN9rocsparse31csrmmnn_row_split_shared_kernelILj256ELj8EdlldddEEvNS_24const_host_device_scalarIT1_EES3_bbbT3_S4_llPKT2_PKS4_PKT4_PKT5_llPT6_ll16rocsparse_order_21rocsparse_index_base_.num_vgpr, 49
	.set _ZN9rocsparse31csrmmnn_row_split_shared_kernelILj256ELj8EdlldddEEvNS_24const_host_device_scalarIT1_EES3_bbbT3_S4_llPKT2_PKS4_PKT4_PKT5_llPT6_ll16rocsparse_order_21rocsparse_index_base_.num_agpr, 0
	.set _ZN9rocsparse31csrmmnn_row_split_shared_kernelILj256ELj8EdlldddEEvNS_24const_host_device_scalarIT1_EES3_bbbT3_S4_llPKT2_PKS4_PKT4_PKT5_llPT6_ll16rocsparse_order_21rocsparse_index_base_.numbered_sgpr, 44
	.set _ZN9rocsparse31csrmmnn_row_split_shared_kernelILj256ELj8EdlldddEEvNS_24const_host_device_scalarIT1_EES3_bbbT3_S4_llPKT2_PKS4_PKT4_PKT5_llPT6_ll16rocsparse_order_21rocsparse_index_base_.num_named_barrier, 0
	.set _ZN9rocsparse31csrmmnn_row_split_shared_kernelILj256ELj8EdlldddEEvNS_24const_host_device_scalarIT1_EES3_bbbT3_S4_llPKT2_PKS4_PKT4_PKT5_llPT6_ll16rocsparse_order_21rocsparse_index_base_.private_seg_size, 0
	.set _ZN9rocsparse31csrmmnn_row_split_shared_kernelILj256ELj8EdlldddEEvNS_24const_host_device_scalarIT1_EES3_bbbT3_S4_llPKT2_PKS4_PKT4_PKT5_llPT6_ll16rocsparse_order_21rocsparse_index_base_.uses_vcc, 1
	.set _ZN9rocsparse31csrmmnn_row_split_shared_kernelILj256ELj8EdlldddEEvNS_24const_host_device_scalarIT1_EES3_bbbT3_S4_llPKT2_PKS4_PKT4_PKT5_llPT6_ll16rocsparse_order_21rocsparse_index_base_.uses_flat_scratch, 0
	.set _ZN9rocsparse31csrmmnn_row_split_shared_kernelILj256ELj8EdlldddEEvNS_24const_host_device_scalarIT1_EES3_bbbT3_S4_llPKT2_PKS4_PKT4_PKT5_llPT6_ll16rocsparse_order_21rocsparse_index_base_.has_dyn_sized_stack, 0
	.set _ZN9rocsparse31csrmmnn_row_split_shared_kernelILj256ELj8EdlldddEEvNS_24const_host_device_scalarIT1_EES3_bbbT3_S4_llPKT2_PKS4_PKT4_PKT5_llPT6_ll16rocsparse_order_21rocsparse_index_base_.has_recursion, 0
	.set _ZN9rocsparse31csrmmnn_row_split_shared_kernelILj256ELj8EdlldddEEvNS_24const_host_device_scalarIT1_EES3_bbbT3_S4_llPKT2_PKS4_PKT4_PKT5_llPT6_ll16rocsparse_order_21rocsparse_index_base_.has_indirect_call, 0
	.section	.AMDGPU.csdata,"",@progbits
; Kernel info:
; codeLenInByte = 1720
; TotalNumSgprs: 46
; NumVgprs: 49
; ScratchSize: 0
; MemoryBound: 0
; FloatMode: 240
; IeeeMode: 1
; LDSByteSize: 4096 bytes/workgroup (compile time only)
; SGPRBlocks: 0
; VGPRBlocks: 6
; NumSGPRsForWavesPerEU: 46
; NumVGPRsForWavesPerEU: 49
; Occupancy: 16
; WaveLimiterHint : 0
; COMPUTE_PGM_RSRC2:SCRATCH_EN: 0
; COMPUTE_PGM_RSRC2:USER_SGPR: 6
; COMPUTE_PGM_RSRC2:TRAP_HANDLER: 0
; COMPUTE_PGM_RSRC2:TGID_X_EN: 1
; COMPUTE_PGM_RSRC2:TGID_Y_EN: 1
; COMPUTE_PGM_RSRC2:TGID_Z_EN: 1
; COMPUTE_PGM_RSRC2:TIDIG_COMP_CNT: 0
	.section	.text._ZN9rocsparse31csrmmnn_row_split_shared_kernelILj256ELj8E21rocsparse_complex_numIfEiiS2_S2_S2_EEvNS_24const_host_device_scalarIT1_EES5_bbbT3_S6_llPKT2_PKS6_PKT4_PKT5_llPT6_ll16rocsparse_order_21rocsparse_index_base_,"axG",@progbits,_ZN9rocsparse31csrmmnn_row_split_shared_kernelILj256ELj8E21rocsparse_complex_numIfEiiS2_S2_S2_EEvNS_24const_host_device_scalarIT1_EES5_bbbT3_S6_llPKT2_PKS6_PKT4_PKT5_llPT6_ll16rocsparse_order_21rocsparse_index_base_,comdat
	.protected	_ZN9rocsparse31csrmmnn_row_split_shared_kernelILj256ELj8E21rocsparse_complex_numIfEiiS2_S2_S2_EEvNS_24const_host_device_scalarIT1_EES5_bbbT3_S6_llPKT2_PKS6_PKT4_PKT5_llPT6_ll16rocsparse_order_21rocsparse_index_base_ ; -- Begin function _ZN9rocsparse31csrmmnn_row_split_shared_kernelILj256ELj8E21rocsparse_complex_numIfEiiS2_S2_S2_EEvNS_24const_host_device_scalarIT1_EES5_bbbT3_S6_llPKT2_PKS6_PKT4_PKT5_llPT6_ll16rocsparse_order_21rocsparse_index_base_
	.globl	_ZN9rocsparse31csrmmnn_row_split_shared_kernelILj256ELj8E21rocsparse_complex_numIfEiiS2_S2_S2_EEvNS_24const_host_device_scalarIT1_EES5_bbbT3_S6_llPKT2_PKS6_PKT4_PKT5_llPT6_ll16rocsparse_order_21rocsparse_index_base_
	.p2align	8
	.type	_ZN9rocsparse31csrmmnn_row_split_shared_kernelILj256ELj8E21rocsparse_complex_numIfEiiS2_S2_S2_EEvNS_24const_host_device_scalarIT1_EES5_bbbT3_S6_llPKT2_PKS6_PKT4_PKT5_llPT6_ll16rocsparse_order_21rocsparse_index_base_,@function
_ZN9rocsparse31csrmmnn_row_split_shared_kernelILj256ELj8E21rocsparse_complex_numIfEiiS2_S2_S2_EEvNS_24const_host_device_scalarIT1_EES5_bbbT3_S6_llPKT2_PKS6_PKT4_PKT5_llPT6_ll16rocsparse_order_21rocsparse_index_base_: ; @_ZN9rocsparse31csrmmnn_row_split_shared_kernelILj256ELj8E21rocsparse_complex_numIfEiiS2_S2_S2_EEvNS_24const_host_device_scalarIT1_EES5_bbbT3_S6_llPKT2_PKS6_PKT4_PKT5_llPT6_ll16rocsparse_order_21rocsparse_index_base_
; %bb.0:
	s_clause 0x1
	s_load_dword s9, s[4:5], 0x10
	s_load_dwordx4 s[0:3], s[4:5], 0x0
	s_or_b32 s10, s4, 8
	s_waitcnt lgkmcnt(0)
	s_bitcmp1_b32 s9, 0
	s_cselect_b32 s0, s4, s0
	s_cselect_b32 s1, s5, s1
	v_mov_b32_e32 v1, s0
	v_mov_b32_e32 v2, s1
	s_cselect_b32 s0, s10, s2
	s_cselect_b32 s1, s5, s3
	flat_load_dwordx2 v[5:6], v[1:2]
	v_mov_b32_e32 v1, s0
	v_mov_b32_e32 v2, s1
	flat_load_dwordx2 v[1:2], v[1:2]
	s_waitcnt vmcnt(1) lgkmcnt(1)
	v_cmp_eq_f32_e32 vcc_lo, 0, v5
	v_cmp_eq_f32_e64 s0, 0, v6
	s_and_b32 s2, vcc_lo, s0
	s_mov_b32 s0, -1
	s_and_saveexec_b32 s1, s2
	s_cbranch_execz .LBB6_2
; %bb.1:
	s_waitcnt vmcnt(0) lgkmcnt(0)
	v_cmp_neq_f32_e32 vcc_lo, 1.0, v1
	v_cmp_neq_f32_e64 s0, 0, v2
	s_or_b32 s0, vcc_lo, s0
	s_orn2_b32 s0, s0, exec_lo
.LBB6_2:
	s_or_b32 exec_lo, exec_lo, s1
	s_and_saveexec_b32 s1, s0
	s_cbranch_execz .LBB6_23
; %bb.3:
	s_load_dwordx4 s[0:3], s[4:5], 0x10
	v_lshl_or_b32 v3, s6, 8, v0
	v_lshrrev_b32_e32 v9, 3, v3
	s_waitcnt lgkmcnt(0)
	v_cmp_gt_i32_e32 vcc_lo, s1, v9
	s_and_b32 exec_lo, exec_lo, vcc_lo
	s_cbranch_execz .LBB6_23
; %bb.4:
	s_load_dwordx16 s[12:27], s[4:5], 0x20
	s_ashr_i32 s3, s8, 31
	v_lshlrev_b32_e32 v3, 2, v9
	v_and_b32_e32 v10, 7, v0
	v_mov_b32_e32 v12, 0
	v_mov_b32_e32 v19, 0
	s_waitcnt lgkmcnt(0)
	s_mul_hi_u32 s1, s12, s8
	s_mul_i32 s6, s12, s3
	s_mul_i32 s11, s13, s8
	s_add_i32 s1, s1, s6
	s_mul_i32 s10, s12, s8
	s_add_i32 s11, s1, s11
	s_mov_b32 s6, exec_lo
	s_lshl_b64 s[10:11], s[10:11], 2
	s_add_u32 s10, s16, s10
	s_addc_u32 s11, s17, s11
	global_load_dwordx2 v[7:8], v3, s[10:11]
	s_load_dwordx2 s[10:11], s[4:5], 0x78
	v_lshl_or_b32 v3, s7, 3, v10
	v_ashrrev_i32_e32 v4, 31, v3
	s_waitcnt vmcnt(0)
	v_cmpx_lt_i32_e64 v7, v8
	s_cbranch_execz .LBB6_12
; %bb.5:
	v_mul_lo_u32 v15, s25, v3
	v_mul_lo_u32 v16, s24, v4
	v_mad_u64_u32 v[17:18], null, s24, v3, 0
	s_bitcmp1_b32 s9, 8
	v_lshrrev_b32_e32 v12, 3, v0
	s_waitcnt lgkmcnt(0)
	v_subrev_nc_u32_e32 v0, s11, v8
	s_cselect_b32 vcc_lo, -1, 0
	s_bitcmp1_b32 s0, 16
	v_subrev_nc_u32_e32 v13, s11, v7
	v_add3_u32 v18, v18, v16, v15
	s_mul_i32 s0, s14, s3
	s_mul_hi_u32 s1, s14, s8
	s_cselect_b32 s7, -1, 0
	s_add_i32 s9, s1, s0
	v_lshlrev_b64 v[7:8], 3, v[17:18]
	s_mul_i32 s0, s26, s3
	s_mul_hi_u32 s1, s26, s8
	s_mul_i32 s12, s27, s8
	s_add_i32 s1, s1, s0
	v_lshl_or_b32 v11, v12, 5, 0x800
	s_add_i32 s13, s1, s12
	v_add_co_u32 v7, s1, s22, v7
	s_mul_i32 s12, s26, s8
	v_lshlrev_b32_e32 v14, 6, v12
	v_add_co_ci_u32_e64 v8, null, s23, v8, s1
	s_lshl_b64 s[12:13], s[12:13], 3
	v_lshl_or_b32 v15, v10, 2, v11
	v_add_co_u32 v17, s1, v7, s12
	v_lshl_or_b32 v16, v10, 3, v14
	v_cmp_gt_i32_e64 s0, s2, v3
	v_add_co_ci_u32_e64 v18, null, s13, v8, s1
	v_mov_b32_e32 v12, 0
	v_mov_b32_e32 v19, 0
	s_mul_i32 s15, s15, s8
	s_mul_i32 s13, s14, s8
	s_add_i32 s9, s9, s15
	s_mov_b32 s12, 0
	s_branch .LBB6_7
.LBB6_6:                                ;   in Loop: Header=BB6_7 Depth=1
	s_or_b32 exec_lo, exec_lo, s14
	v_add_nc_u32_e32 v13, 8, v13
	v_cmp_ge_i32_e64 s1, v13, v0
	s_or_b32 s12, s1, s12
	s_andn2_b32 exec_lo, exec_lo, s12
	s_cbranch_execz .LBB6_11
.LBB6_7:                                ; =>This Inner Loop Header: Depth=1
	v_add_nc_u32_e32 v21, v10, v13
	v_mov_b32_e32 v20, 0
	v_mov_b32_e32 v7, 0
	;; [unrolled: 1-line block ×3, first 2 shown]
	s_mov_b32 s14, exec_lo
	s_barrier
	buffer_gl0_inv
	v_cmpx_lt_i32_e64 v21, v0
	s_cbranch_execz .LBB6_9
; %bb.8:                                ;   in Loop: Header=BB6_7 Depth=1
	v_ashrrev_i32_e32 v8, 31, v21
	v_add_co_u32 v7, s1, s13, v21
	v_add_co_ci_u32_e64 v8, null, s9, v8, s1
	v_lshlrev_b64 v[20:21], 3, v[7:8]
	v_lshlrev_b64 v[7:8], 2, v[7:8]
	v_add_co_u32 v20, s1, s20, v20
	v_add_co_ci_u32_e64 v21, null, s21, v21, s1
	v_add_co_u32 v22, s1, s18, v7
	v_add_co_ci_u32_e64 v23, null, s19, v8, s1
	global_load_dwordx2 v[7:8], v[20:21], off
	global_load_dword v20, v[22:23], off
	s_waitcnt vmcnt(1)
	v_xor_b32_e32 v21, 0x80000000, v8
	s_waitcnt vmcnt(0)
	v_subrev_nc_u32_e32 v20, s11, v20
	v_cndmask_b32_e32 v8, v8, v21, vcc_lo
.LBB6_9:                                ;   in Loop: Header=BB6_7 Depth=1
	s_or_b32 exec_lo, exec_lo, s14
	ds_write_b32 v15, v20
	ds_write_b64 v16, v[7:8]
	s_waitcnt lgkmcnt(0)
	s_barrier
	buffer_gl0_inv
	s_and_saveexec_b32 s14, s0
	s_cbranch_execz .LBB6_6
; %bb.10:                               ;   in Loop: Header=BB6_7 Depth=1
	ds_read_b128 v[20:23], v11
	ds_read_b128 v[24:27], v11 offset:16
	s_waitcnt lgkmcnt(1)
	v_ashrrev_i32_e32 v8, 31, v20
	v_mov_b32_e32 v7, v20
	v_ashrrev_i32_e32 v29, 31, v21
	v_mov_b32_e32 v28, v21
	s_waitcnt lgkmcnt(0)
	v_ashrrev_i32_e32 v33, 31, v25
	v_mov_b32_e32 v32, v25
	v_lshlrev_b64 v[7:8], 3, v[7:8]
	v_ashrrev_i32_e32 v25, 31, v26
	v_lshlrev_b64 v[20:21], 3, v[28:29]
	v_ashrrev_i32_e32 v29, 31, v22
	v_mov_b32_e32 v28, v22
	v_ashrrev_i32_e32 v22, 31, v23
	v_add_co_u32 v7, s1, v17, v7
	v_add_co_ci_u32_e64 v8, null, v18, v8, s1
	v_lshlrev_b64 v[28:29], 3, v[28:29]
	v_add_co_u32 v20, s1, v17, v20
	global_load_dwordx2 v[7:8], v[7:8], off
	v_add_co_ci_u32_e64 v21, null, v18, v21, s1
	v_add_co_u32 v28, s1, v17, v28
	v_add_co_ci_u32_e64 v29, null, v18, v29, s1
	s_clause 0x1
	global_load_dwordx2 v[30:31], v[20:21], off
	global_load_dwordx2 v[28:29], v[28:29], off
	v_mov_b32_e32 v21, v23
	v_ashrrev_i32_e32 v23, 31, v24
	v_lshlrev_b64 v[20:21], 3, v[21:22]
	v_mov_b32_e32 v22, v24
	v_mov_b32_e32 v24, v26
	v_add_co_u32 v20, s1, v17, v20
	v_add_co_ci_u32_e64 v21, null, v18, v21, s1
	v_lshlrev_b64 v[22:23], 3, v[22:23]
	global_load_dwordx2 v[34:35], v[20:21], off
	v_add_co_u32 v20, s1, v17, v22
	v_add_co_ci_u32_e64 v21, null, v18, v23, s1
	v_lshlrev_b64 v[22:23], 3, v[32:33]
	global_load_dwordx2 v[32:33], v[20:21], off
	v_add_co_u32 v20, s1, v17, v22
	v_add_co_ci_u32_e64 v21, null, v18, v23, s1
	v_lshlrev_b64 v[22:23], 3, v[24:25]
	v_ashrrev_i32_e32 v25, 31, v27
	v_mov_b32_e32 v24, v27
	global_load_dwordx2 v[36:37], v[20:21], off
	v_add_co_u32 v20, s1, v17, v22
	v_add_co_ci_u32_e64 v21, null, v18, v23, s1
	v_lshlrev_b64 v[22:23], 3, v[24:25]
	global_load_dwordx2 v[38:39], v[20:21], off
	v_add_co_u32 v20, s1, v17, v22
	v_add_co_ci_u32_e64 v21, null, v18, v23, s1
	global_load_dwordx2 v[40:41], v[20:21], off
	ds_read_b128 v[20:23], v14
	ds_read_b128 v[24:27], v14 offset:16
	s_waitcnt vmcnt(7)
	v_cndmask_b32_e64 v8, v8, -v8, s7
	s_waitcnt lgkmcnt(1)
	v_fmac_f32_e32 v19, v20, v7
	v_fmac_f32_e32 v12, v21, v7
	v_fma_f32 v7, -v21, v8, v19
	v_fmac_f32_e32 v12, v20, v8
	s_waitcnt vmcnt(6)
	v_cndmask_b32_e64 v8, v31, -v31, s7
	v_fmac_f32_e32 v7, v22, v30
	v_fmac_f32_e32 v12, v23, v30
	v_fma_f32 v7, -v23, v8, v7
	v_fmac_f32_e32 v12, v22, v8
	ds_read_b128 v[19:22], v14 offset:32
	s_waitcnt vmcnt(5)
	v_cndmask_b32_e64 v8, v29, -v29, s7
	s_waitcnt lgkmcnt(1)
	v_fmac_f32_e32 v7, v24, v28
	v_fmac_f32_e32 v12, v25, v28
	v_fma_f32 v7, -v25, v8, v7
	v_fmac_f32_e32 v12, v24, v8
	s_waitcnt vmcnt(4)
	v_cndmask_b32_e64 v8, v35, -v35, s7
	v_fmac_f32_e32 v7, v26, v34
	v_fmac_f32_e32 v12, v27, v34
	v_fma_f32 v7, -v27, v8, v7
	v_fmac_f32_e32 v12, v26, v8
	;; [unrolled: 14-line block ×3, first 2 shown]
	s_waitcnt vmcnt(1)
	v_cndmask_b32_e64 v8, v39, -v39, s7
	s_waitcnt lgkmcnt(0)
	v_fmac_f32_e32 v7, v23, v38
	v_fmac_f32_e32 v12, v24, v38
	v_fma_f32 v7, -v24, v8, v7
	v_fmac_f32_e32 v12, v23, v8
	s_waitcnt vmcnt(0)
	v_cndmask_b32_e64 v8, v41, -v41, s7
	v_fmac_f32_e32 v7, v25, v40
	v_fmac_f32_e32 v12, v26, v40
	v_fma_f32 v19, -v26, v8, v7
	v_fmac_f32_e32 v12, v25, v8
	s_branch .LBB6_6
.LBB6_11:
	s_or_b32 exec_lo, exec_lo, s12
.LBB6_12:
	s_or_b32 exec_lo, exec_lo, s6
	v_cmp_gt_i32_e32 vcc_lo, s2, v3
	s_and_b32 exec_lo, exec_lo, vcc_lo
	s_cbranch_execz .LBB6_23
; %bb.13:
	s_clause 0x1
	s_load_dwordx2 s[12:13], s[4:5], 0x70
	s_load_dwordx4 s[4:7], s[4:5], 0x60
	v_cmp_neq_f32_e32 vcc_lo, 0, v1
	v_cmp_neq_f32_e64 s0, 0, v2
	v_mul_f32_e64 v7, v12, -v6
	v_mul_f32_e32 v8, v5, v12
	s_or_b32 s1, vcc_lo, s0
	v_fmac_f32_e32 v7, v5, v19
	v_fmac_f32_e32 v8, v6, v19
	s_waitcnt lgkmcnt(0)
	s_cmp_lg_u32 s10, 1
	s_cselect_b32 s2, -1, 0
	s_mul_i32 s9, s12, s3
	s_mul_hi_u32 s10, s12, s8
	s_mul_i32 s3, s13, s8
	s_mul_i32 s0, s12, s8
	s_and_saveexec_b32 s8, s1
	s_xor_b32 s8, exec_lo, s8
	s_cbranch_execz .LBB6_18
; %bb.14:
	s_add_i32 s1, s10, s9
	s_and_b32 vcc_lo, exec_lo, s2
	s_add_i32 s1, s1, s3
	s_mov_b32 s11, -1
	s_cbranch_vccz .LBB6_16
; %bb.15:
	v_mad_u64_u32 v[5:6], null, s6, v9, 0
	s_lshl_b64 s[12:13], s[0:1], 3
	s_mov_b32 s11, 0
	v_mov_b32_e32 v0, v6
	v_mad_u64_u32 v[10:11], null, s7, v9, v[0:1]
	v_mov_b32_e32 v6, v10
	v_lshlrev_b64 v[10:11], 3, v[3:4]
	v_lshlrev_b64 v[5:6], 3, v[5:6]
	v_add_co_u32 v0, vcc_lo, s4, v5
	v_add_co_ci_u32_e64 v5, null, s5, v6, vcc_lo
	v_add_co_u32 v0, vcc_lo, v0, v10
	v_add_co_ci_u32_e64 v6, null, v5, v11, vcc_lo
	;; [unrolled: 2-line block ×3, first 2 shown]
	global_load_dwordx2 v[10:11], v[5:6], off
	s_waitcnt vmcnt(0)
	v_fma_f32 v0, v1, v10, v7
	v_fma_f32 v13, v2, v10, v8
	v_fma_f32 v12, -v2, v11, v0
	v_fmac_f32_e32 v13, v1, v11
	global_store_dwordx2 v[5:6], v[12:13], off
.LBB6_16:
	s_andn2_b32 vcc_lo, exec_lo, s11
	s_cbranch_vccnz .LBB6_18
; %bb.17:
	v_mul_lo_u32 v0, s7, v3
	v_mul_lo_u32 v5, s6, v4
	v_mad_u64_u32 v[3:4], null, s6, v3, 0
	s_lshl_b64 s[12:13], s[0:1], 3
	v_add3_u32 v4, v4, v5, v0
	v_lshlrev_b32_e32 v0, 3, v9
                                        ; implicit-def: $vgpr9
	v_lshlrev_b64 v[3:4], 3, v[3:4]
	v_add_co_u32 v3, vcc_lo, s4, v3
	v_add_co_ci_u32_e64 v4, null, s5, v4, vcc_lo
	v_add_co_u32 v0, vcc_lo, v3, v0
	v_add_co_ci_u32_e64 v4, null, 0, v4, vcc_lo
	;; [unrolled: 2-line block ×3, first 2 shown]
	global_load_dwordx2 v[5:6], v[3:4], off
	s_waitcnt vmcnt(0)
	v_fmac_f32_e32 v7, v1, v5
	v_fmac_f32_e32 v8, v2, v5
	v_fma_f32 v7, -v2, v6, v7
	v_fmac_f32_e32 v8, v1, v6
	global_store_dwordx2 v[3:4], v[7:8], off
                                        ; implicit-def: $vgpr3_vgpr4
                                        ; implicit-def: $vgpr7
.LBB6_18:
	s_andn2_saveexec_b32 s1, s8
	s_cbranch_execz .LBB6_23
; %bb.19:
	s_add_i32 s1, s10, s9
	s_and_b32 vcc_lo, exec_lo, s2
	s_add_i32 s1, s1, s3
	s_mov_b32 s2, -1
	s_cbranch_vccz .LBB6_21
; %bb.20:
	v_mad_u64_u32 v[0:1], null, s6, v9, 0
	v_lshlrev_b64 v[5:6], 3, v[3:4]
	s_lshl_b64 s[2:3], s[0:1], 3
	v_mad_u64_u32 v[1:2], null, s7, v9, v[1:2]
	v_lshlrev_b64 v[0:1], 3, v[0:1]
	v_add_co_u32 v0, vcc_lo, s4, v0
	v_add_co_ci_u32_e64 v1, null, s5, v1, vcc_lo
	v_add_co_u32 v0, vcc_lo, v0, v5
	v_add_co_ci_u32_e64 v1, null, v1, v6, vcc_lo
	;; [unrolled: 2-line block ×3, first 2 shown]
	s_mov_b32 s2, 0
	global_store_dwordx2 v[0:1], v[7:8], off
.LBB6_21:
	s_andn2_b32 vcc_lo, exec_lo, s2
	s_cbranch_vccnz .LBB6_23
; %bb.22:
	v_mul_lo_u32 v2, s7, v3
	v_mul_lo_u32 v4, s6, v4
	v_mad_u64_u32 v[0:1], null, s6, v3, 0
	s_lshl_b64 s[0:1], s[0:1], 3
	v_add3_u32 v1, v1, v4, v2
	v_lshlrev_b32_e32 v2, 3, v9
	v_lshlrev_b64 v[0:1], 3, v[0:1]
	v_add_co_u32 v0, vcc_lo, s4, v0
	v_add_co_ci_u32_e64 v1, null, s5, v1, vcc_lo
	v_add_co_u32 v0, vcc_lo, v0, v2
	v_add_co_ci_u32_e64 v1, null, 0, v1, vcc_lo
	;; [unrolled: 2-line block ×3, first 2 shown]
	global_store_dwordx2 v[0:1], v[7:8], off
.LBB6_23:
	s_endpgm
	.section	.rodata,"a",@progbits
	.p2align	6, 0x0
	.amdhsa_kernel _ZN9rocsparse31csrmmnn_row_split_shared_kernelILj256ELj8E21rocsparse_complex_numIfEiiS2_S2_S2_EEvNS_24const_host_device_scalarIT1_EES5_bbbT3_S6_llPKT2_PKS6_PKT4_PKT5_llPT6_ll16rocsparse_order_21rocsparse_index_base_
		.amdhsa_group_segment_fixed_size 3072
		.amdhsa_private_segment_fixed_size 0
		.amdhsa_kernarg_size 128
		.amdhsa_user_sgpr_count 6
		.amdhsa_user_sgpr_private_segment_buffer 1
		.amdhsa_user_sgpr_dispatch_ptr 0
		.amdhsa_user_sgpr_queue_ptr 0
		.amdhsa_user_sgpr_kernarg_segment_ptr 1
		.amdhsa_user_sgpr_dispatch_id 0
		.amdhsa_user_sgpr_flat_scratch_init 0
		.amdhsa_user_sgpr_private_segment_size 0
		.amdhsa_wavefront_size32 1
		.amdhsa_uses_dynamic_stack 0
		.amdhsa_system_sgpr_private_segment_wavefront_offset 0
		.amdhsa_system_sgpr_workgroup_id_x 1
		.amdhsa_system_sgpr_workgroup_id_y 1
		.amdhsa_system_sgpr_workgroup_id_z 1
		.amdhsa_system_sgpr_workgroup_info 0
		.amdhsa_system_vgpr_workitem_id 0
		.amdhsa_next_free_vgpr 42
		.amdhsa_next_free_sgpr 28
		.amdhsa_reserve_vcc 1
		.amdhsa_reserve_flat_scratch 0
		.amdhsa_float_round_mode_32 0
		.amdhsa_float_round_mode_16_64 0
		.amdhsa_float_denorm_mode_32 3
		.amdhsa_float_denorm_mode_16_64 3
		.amdhsa_dx10_clamp 1
		.amdhsa_ieee_mode 1
		.amdhsa_fp16_overflow 0
		.amdhsa_workgroup_processor_mode 1
		.amdhsa_memory_ordered 1
		.amdhsa_forward_progress 1
		.amdhsa_shared_vgpr_count 0
		.amdhsa_exception_fp_ieee_invalid_op 0
		.amdhsa_exception_fp_denorm_src 0
		.amdhsa_exception_fp_ieee_div_zero 0
		.amdhsa_exception_fp_ieee_overflow 0
		.amdhsa_exception_fp_ieee_underflow 0
		.amdhsa_exception_fp_ieee_inexact 0
		.amdhsa_exception_int_div_zero 0
	.end_amdhsa_kernel
	.section	.text._ZN9rocsparse31csrmmnn_row_split_shared_kernelILj256ELj8E21rocsparse_complex_numIfEiiS2_S2_S2_EEvNS_24const_host_device_scalarIT1_EES5_bbbT3_S6_llPKT2_PKS6_PKT4_PKT5_llPT6_ll16rocsparse_order_21rocsparse_index_base_,"axG",@progbits,_ZN9rocsparse31csrmmnn_row_split_shared_kernelILj256ELj8E21rocsparse_complex_numIfEiiS2_S2_S2_EEvNS_24const_host_device_scalarIT1_EES5_bbbT3_S6_llPKT2_PKS6_PKT4_PKT5_llPT6_ll16rocsparse_order_21rocsparse_index_base_,comdat
.Lfunc_end6:
	.size	_ZN9rocsparse31csrmmnn_row_split_shared_kernelILj256ELj8E21rocsparse_complex_numIfEiiS2_S2_S2_EEvNS_24const_host_device_scalarIT1_EES5_bbbT3_S6_llPKT2_PKS6_PKT4_PKT5_llPT6_ll16rocsparse_order_21rocsparse_index_base_, .Lfunc_end6-_ZN9rocsparse31csrmmnn_row_split_shared_kernelILj256ELj8E21rocsparse_complex_numIfEiiS2_S2_S2_EEvNS_24const_host_device_scalarIT1_EES5_bbbT3_S6_llPKT2_PKS6_PKT4_PKT5_llPT6_ll16rocsparse_order_21rocsparse_index_base_
                                        ; -- End function
	.set _ZN9rocsparse31csrmmnn_row_split_shared_kernelILj256ELj8E21rocsparse_complex_numIfEiiS2_S2_S2_EEvNS_24const_host_device_scalarIT1_EES5_bbbT3_S6_llPKT2_PKS6_PKT4_PKT5_llPT6_ll16rocsparse_order_21rocsparse_index_base_.num_vgpr, 42
	.set _ZN9rocsparse31csrmmnn_row_split_shared_kernelILj256ELj8E21rocsparse_complex_numIfEiiS2_S2_S2_EEvNS_24const_host_device_scalarIT1_EES5_bbbT3_S6_llPKT2_PKS6_PKT4_PKT5_llPT6_ll16rocsparse_order_21rocsparse_index_base_.num_agpr, 0
	.set _ZN9rocsparse31csrmmnn_row_split_shared_kernelILj256ELj8E21rocsparse_complex_numIfEiiS2_S2_S2_EEvNS_24const_host_device_scalarIT1_EES5_bbbT3_S6_llPKT2_PKS6_PKT4_PKT5_llPT6_ll16rocsparse_order_21rocsparse_index_base_.numbered_sgpr, 28
	.set _ZN9rocsparse31csrmmnn_row_split_shared_kernelILj256ELj8E21rocsparse_complex_numIfEiiS2_S2_S2_EEvNS_24const_host_device_scalarIT1_EES5_bbbT3_S6_llPKT2_PKS6_PKT4_PKT5_llPT6_ll16rocsparse_order_21rocsparse_index_base_.num_named_barrier, 0
	.set _ZN9rocsparse31csrmmnn_row_split_shared_kernelILj256ELj8E21rocsparse_complex_numIfEiiS2_S2_S2_EEvNS_24const_host_device_scalarIT1_EES5_bbbT3_S6_llPKT2_PKS6_PKT4_PKT5_llPT6_ll16rocsparse_order_21rocsparse_index_base_.private_seg_size, 0
	.set _ZN9rocsparse31csrmmnn_row_split_shared_kernelILj256ELj8E21rocsparse_complex_numIfEiiS2_S2_S2_EEvNS_24const_host_device_scalarIT1_EES5_bbbT3_S6_llPKT2_PKS6_PKT4_PKT5_llPT6_ll16rocsparse_order_21rocsparse_index_base_.uses_vcc, 1
	.set _ZN9rocsparse31csrmmnn_row_split_shared_kernelILj256ELj8E21rocsparse_complex_numIfEiiS2_S2_S2_EEvNS_24const_host_device_scalarIT1_EES5_bbbT3_S6_llPKT2_PKS6_PKT4_PKT5_llPT6_ll16rocsparse_order_21rocsparse_index_base_.uses_flat_scratch, 0
	.set _ZN9rocsparse31csrmmnn_row_split_shared_kernelILj256ELj8E21rocsparse_complex_numIfEiiS2_S2_S2_EEvNS_24const_host_device_scalarIT1_EES5_bbbT3_S6_llPKT2_PKS6_PKT4_PKT5_llPT6_ll16rocsparse_order_21rocsparse_index_base_.has_dyn_sized_stack, 0
	.set _ZN9rocsparse31csrmmnn_row_split_shared_kernelILj256ELj8E21rocsparse_complex_numIfEiiS2_S2_S2_EEvNS_24const_host_device_scalarIT1_EES5_bbbT3_S6_llPKT2_PKS6_PKT4_PKT5_llPT6_ll16rocsparse_order_21rocsparse_index_base_.has_recursion, 0
	.set _ZN9rocsparse31csrmmnn_row_split_shared_kernelILj256ELj8E21rocsparse_complex_numIfEiiS2_S2_S2_EEvNS_24const_host_device_scalarIT1_EES5_bbbT3_S6_llPKT2_PKS6_PKT4_PKT5_llPT6_ll16rocsparse_order_21rocsparse_index_base_.has_indirect_call, 0
	.section	.AMDGPU.csdata,"",@progbits
; Kernel info:
; codeLenInByte = 2056
; TotalNumSgprs: 30
; NumVgprs: 42
; ScratchSize: 0
; MemoryBound: 0
; FloatMode: 240
; IeeeMode: 1
; LDSByteSize: 3072 bytes/workgroup (compile time only)
; SGPRBlocks: 0
; VGPRBlocks: 5
; NumSGPRsForWavesPerEU: 30
; NumVGPRsForWavesPerEU: 42
; Occupancy: 16
; WaveLimiterHint : 1
; COMPUTE_PGM_RSRC2:SCRATCH_EN: 0
; COMPUTE_PGM_RSRC2:USER_SGPR: 6
; COMPUTE_PGM_RSRC2:TRAP_HANDLER: 0
; COMPUTE_PGM_RSRC2:TGID_X_EN: 1
; COMPUTE_PGM_RSRC2:TGID_Y_EN: 1
; COMPUTE_PGM_RSRC2:TGID_Z_EN: 1
; COMPUTE_PGM_RSRC2:TIDIG_COMP_CNT: 0
	.section	.text._ZN9rocsparse31csrmmnn_row_split_shared_kernelILj256ELj8E21rocsparse_complex_numIfEliS2_S2_S2_EEvNS_24const_host_device_scalarIT1_EES5_bbbT3_S6_llPKT2_PKS6_PKT4_PKT5_llPT6_ll16rocsparse_order_21rocsparse_index_base_,"axG",@progbits,_ZN9rocsparse31csrmmnn_row_split_shared_kernelILj256ELj8E21rocsparse_complex_numIfEliS2_S2_S2_EEvNS_24const_host_device_scalarIT1_EES5_bbbT3_S6_llPKT2_PKS6_PKT4_PKT5_llPT6_ll16rocsparse_order_21rocsparse_index_base_,comdat
	.protected	_ZN9rocsparse31csrmmnn_row_split_shared_kernelILj256ELj8E21rocsparse_complex_numIfEliS2_S2_S2_EEvNS_24const_host_device_scalarIT1_EES5_bbbT3_S6_llPKT2_PKS6_PKT4_PKT5_llPT6_ll16rocsparse_order_21rocsparse_index_base_ ; -- Begin function _ZN9rocsparse31csrmmnn_row_split_shared_kernelILj256ELj8E21rocsparse_complex_numIfEliS2_S2_S2_EEvNS_24const_host_device_scalarIT1_EES5_bbbT3_S6_llPKT2_PKS6_PKT4_PKT5_llPT6_ll16rocsparse_order_21rocsparse_index_base_
	.globl	_ZN9rocsparse31csrmmnn_row_split_shared_kernelILj256ELj8E21rocsparse_complex_numIfEliS2_S2_S2_EEvNS_24const_host_device_scalarIT1_EES5_bbbT3_S6_llPKT2_PKS6_PKT4_PKT5_llPT6_ll16rocsparse_order_21rocsparse_index_base_
	.p2align	8
	.type	_ZN9rocsparse31csrmmnn_row_split_shared_kernelILj256ELj8E21rocsparse_complex_numIfEliS2_S2_S2_EEvNS_24const_host_device_scalarIT1_EES5_bbbT3_S6_llPKT2_PKS6_PKT4_PKT5_llPT6_ll16rocsparse_order_21rocsparse_index_base_,@function
_ZN9rocsparse31csrmmnn_row_split_shared_kernelILj256ELj8E21rocsparse_complex_numIfEliS2_S2_S2_EEvNS_24const_host_device_scalarIT1_EES5_bbbT3_S6_llPKT2_PKS6_PKT4_PKT5_llPT6_ll16rocsparse_order_21rocsparse_index_base_: ; @_ZN9rocsparse31csrmmnn_row_split_shared_kernelILj256ELj8E21rocsparse_complex_numIfEliS2_S2_S2_EEvNS_24const_host_device_scalarIT1_EES5_bbbT3_S6_llPKT2_PKS6_PKT4_PKT5_llPT6_ll16rocsparse_order_21rocsparse_index_base_
; %bb.0:
	s_clause 0x1
	s_load_dword s1, s[4:5], 0x10
	s_load_dwordx4 s[12:15], s[4:5], 0x0
	s_or_b32 s0, s4, 8
	s_waitcnt lgkmcnt(0)
	s_bitcmp1_b32 s1, 0
	s_cselect_b32 s2, s4, s12
	s_cselect_b32 s3, s5, s13
	v_mov_b32_e32 v1, s2
	v_mov_b32_e32 v2, s3
	s_cselect_b32 s0, s0, s14
	s_cselect_b32 s2, s5, s15
	flat_load_dwordx2 v[9:10], v[1:2]
	v_mov_b32_e32 v1, s0
	v_mov_b32_e32 v2, s2
	flat_load_dwordx2 v[5:6], v[1:2]
	s_waitcnt vmcnt(1) lgkmcnt(1)
	v_cmp_eq_f32_e32 vcc_lo, 0, v9
	v_cmp_eq_f32_e64 s0, 0, v10
	s_and_b32 s3, vcc_lo, s0
	s_mov_b32 s0, -1
	s_and_saveexec_b32 s2, s3
	s_cbranch_execz .LBB7_2
; %bb.1:
	s_waitcnt vmcnt(0) lgkmcnt(0)
	v_cmp_neq_f32_e32 vcc_lo, 1.0, v5
	v_cmp_neq_f32_e64 s0, 0, v6
	s_or_b32 s0, vcc_lo, s0
	s_orn2_b32 s0, s0, exec_lo
.LBB7_2:
	s_or_b32 exec_lo, exec_lo, s2
	s_and_saveexec_b32 s2, s0
	s_cbranch_execz .LBB7_23
; %bb.3:
	s_load_dwordx4 s[28:31], s[4:5], 0x10
	v_lshl_or_b32 v1, s6, 8, v0
	v_lshrrev_b32_e32 v18, 3, v1
	s_waitcnt lgkmcnt(0)
	v_cmp_gt_i32_e32 vcc_lo, s29, v18
	s_and_b32 exec_lo, exec_lo, vcc_lo
	s_cbranch_execz .LBB7_23
; %bb.4:
	s_load_dwordx16 s[12:27], s[4:5], 0x20
	s_ashr_i32 s3, s8, 31
	v_lshlrev_b32_e32 v17, 3, v18
	v_and_b32_e32 v19, 7, v0
	v_mov_b32_e32 v20, 0
	v_mov_b32_e32 v26, 0
	v_lshl_or_b32 v7, s7, 3, v19
	v_ashrrev_i32_e32 v8, 31, v7
	s_waitcnt lgkmcnt(0)
	s_mul_hi_u32 s0, s12, s8
	s_mul_i32 s2, s12, s3
	s_mul_i32 s6, s13, s8
	s_add_i32 s0, s0, s2
	s_mul_i32 s10, s12, s8
	s_add_i32 s11, s0, s6
	s_mov_b32 s6, exec_lo
	s_lshl_b64 s[10:11], s[10:11], 3
	s_add_u32 s10, s16, s10
	s_addc_u32 s11, s17, s11
	global_load_dwordx4 v[1:4], v17, s[10:11]
	s_load_dwordx2 s[10:11], s[4:5], 0x78
	s_waitcnt vmcnt(0)
	v_cmpx_lt_i64_e64 v[1:2], v[3:4]
	s_cbranch_execz .LBB7_12
; %bb.5:
	v_lshrrev_b32_e32 v0, 3, v0
	s_waitcnt lgkmcnt(0)
	v_sub_co_u32 v11, s0, v1, s11
	v_mul_lo_u32 v15, s25, v7
	v_mul_lo_u32 v16, s24, v8
	v_lshl_or_b32 v21, v0, 5, 0x800
	v_lshlrev_b32_e32 v22, 6, v0
	v_mad_u64_u32 v[0:1], null, s14, s8, v[1:2]
	v_mad_u64_u32 v[13:14], null, s24, v7, 0
	v_sub_co_u32 v3, vcc_lo, v3, s11
	s_bitcmp1_b32 s1, 8
	s_mul_i32 s9, s15, s8
	s_mul_i32 s12, s14, s3
	v_subrev_co_ci_u32_e64 v4, null, 0, v4, vcc_lo
	s_cselect_b32 vcc_lo, -1, 0
	s_bitcmp1_b32 s28, 16
	s_mul_i32 s1, s26, s3
	s_mul_hi_u32 s2, s26, s8
	v_add3_u32 v1, s12, s9, v1
	s_cselect_b32 s7, -1, 0
	s_add_i32 s1, s2, s1
	s_mul_i32 s2, s27, s8
	v_add3_u32 v14, v14, v16, v15
	v_subrev_co_ci_u32_e64 v12, null, 0, v2, s0
	s_add_i32 s13, s1, s2
	v_add_co_u32 v2, s1, v0, v19
	v_add_co_ci_u32_e64 v15, null, 0, v1, s1
	v_lshlrev_b64 v[0:1], 3, v[13:14]
	v_sub_co_u32 v13, s1, v2, s11
	v_subrev_co_ci_u32_e64 v14, null, 0, v15, s1
	s_mul_i32 s12, s26, s8
	v_add_co_u32 v2, s1, s22, v0
	v_add_co_ci_u32_e64 v15, null, s23, v1, s1
	v_lshlrev_b64 v[0:1], 3, v[13:14]
	s_lshl_b64 s[12:13], s[12:13], 3
	v_lshlrev_b64 v[13:14], 2, v[13:14]
	v_add_co_u32 v2, s1, v2, s12
	v_add_co_ci_u32_e64 v25, null, s13, v15, s1
	v_add_co_u32 v15, s1, s20, v0
	v_add_co_ci_u32_e64 v16, null, s21, v1, s1
	;; [unrolled: 2-line block ×3, first 2 shown]
	v_add_co_u32 v13, s1, v15, 4
	v_mov_b32_e32 v20, 0
	v_lshl_or_b32 v23, v19, 2, v21
	v_lshl_or_b32 v24, v19, 3, v22
	v_cmp_gt_i32_e64 s0, s30, v7
	v_add_co_ci_u32_e64 v14, null, 0, v16, s1
	v_mov_b32_e32 v26, 0
	s_mov_b32 s9, 0
	s_branch .LBB7_7
.LBB7_6:                                ;   in Loop: Header=BB7_7 Depth=1
	s_or_b32 exec_lo, exec_lo, s2
	v_add_co_u32 v11, s1, v11, 8
	v_add_co_ci_u32_e64 v12, null, 0, v12, s1
	v_add_co_u32 v0, s1, v0, 32
	v_add_co_ci_u32_e64 v1, null, 0, v1, s1
	v_cmp_ge_i64_e64 s1, v[11:12], v[3:4]
	v_add_co_u32 v13, s2, v13, 64
	v_add_co_ci_u32_e64 v14, null, 0, v14, s2
	s_or_b32 s9, s1, s9
	s_andn2_b32 exec_lo, exec_lo, s9
	s_cbranch_execz .LBB7_11
.LBB7_7:                                ; =>This Inner Loop Header: Depth=1
	v_add_co_u32 v15, s1, v19, v11
	v_add_co_ci_u32_e64 v16, null, 0, v12, s1
	v_mov_b32_e32 v27, 0
	s_barrier
	v_cmp_lt_i64_e64 s1, v[15:16], v[3:4]
	v_mov_b32_e32 v15, 0
	v_mov_b32_e32 v16, 0
	buffer_gl0_inv
	s_and_saveexec_b32 s2, s1
	s_cbranch_execz .LBB7_9
; %bb.8:                                ;   in Loop: Header=BB7_7 Depth=1
	global_load_dwordx2 v[15:16], v[13:14], off offset:-4
	global_load_dword v27, v[0:1], off
	s_waitcnt vmcnt(1)
	v_xor_b32_e32 v28, 0x80000000, v16
	s_waitcnt vmcnt(0)
	v_subrev_nc_u32_e32 v27, s11, v27
	v_cndmask_b32_e32 v16, v16, v28, vcc_lo
.LBB7_9:                                ;   in Loop: Header=BB7_7 Depth=1
	s_or_b32 exec_lo, exec_lo, s2
	ds_write_b32 v23, v27
	ds_write_b64 v24, v[15:16]
	s_waitcnt lgkmcnt(0)
	s_barrier
	buffer_gl0_inv
	s_and_saveexec_b32 s2, s0
	s_cbranch_execz .LBB7_6
; %bb.10:                               ;   in Loop: Header=BB7_7 Depth=1
	ds_read_b128 v[27:30], v21
	ds_read_b128 v[31:34], v21 offset:16
	s_waitcnt lgkmcnt(1)
	v_ashrrev_i32_e32 v16, 31, v27
	v_mov_b32_e32 v15, v27
	v_ashrrev_i32_e32 v36, 31, v28
	v_mov_b32_e32 v35, v28
	s_waitcnt lgkmcnt(0)
	v_ashrrev_i32_e32 v40, 31, v32
	v_mov_b32_e32 v39, v32
	v_lshlrev_b64 v[15:16], 3, v[15:16]
	v_ashrrev_i32_e32 v32, 31, v33
	v_lshlrev_b64 v[27:28], 3, v[35:36]
	v_ashrrev_i32_e32 v36, 31, v29
	v_mov_b32_e32 v35, v29
	v_ashrrev_i32_e32 v29, 31, v30
	v_add_co_u32 v15, s1, v2, v15
	v_add_co_ci_u32_e64 v16, null, v25, v16, s1
	v_lshlrev_b64 v[35:36], 3, v[35:36]
	v_add_co_u32 v27, s1, v2, v27
	global_load_dwordx2 v[15:16], v[15:16], off
	v_add_co_ci_u32_e64 v28, null, v25, v28, s1
	v_add_co_u32 v35, s1, v2, v35
	v_add_co_ci_u32_e64 v36, null, v25, v36, s1
	s_clause 0x1
	global_load_dwordx2 v[37:38], v[27:28], off
	global_load_dwordx2 v[35:36], v[35:36], off
	v_mov_b32_e32 v28, v30
	v_ashrrev_i32_e32 v30, 31, v31
	v_lshlrev_b64 v[27:28], 3, v[28:29]
	v_mov_b32_e32 v29, v31
	v_mov_b32_e32 v31, v33
	v_add_co_u32 v27, s1, v2, v27
	v_add_co_ci_u32_e64 v28, null, v25, v28, s1
	v_lshlrev_b64 v[29:30], 3, v[29:30]
	global_load_dwordx2 v[41:42], v[27:28], off
	v_add_co_u32 v27, s1, v2, v29
	v_add_co_ci_u32_e64 v28, null, v25, v30, s1
	v_lshlrev_b64 v[29:30], 3, v[39:40]
	global_load_dwordx2 v[39:40], v[27:28], off
	v_add_co_u32 v27, s1, v2, v29
	v_add_co_ci_u32_e64 v28, null, v25, v30, s1
	v_lshlrev_b64 v[29:30], 3, v[31:32]
	v_ashrrev_i32_e32 v32, 31, v34
	v_mov_b32_e32 v31, v34
	global_load_dwordx2 v[43:44], v[27:28], off
	v_add_co_u32 v27, s1, v2, v29
	v_add_co_ci_u32_e64 v28, null, v25, v30, s1
	v_lshlrev_b64 v[29:30], 3, v[31:32]
	global_load_dwordx2 v[45:46], v[27:28], off
	v_add_co_u32 v27, s1, v2, v29
	v_add_co_ci_u32_e64 v28, null, v25, v30, s1
	global_load_dwordx2 v[47:48], v[27:28], off
	ds_read_b128 v[27:30], v22
	ds_read_b128 v[31:34], v22 offset:16
	s_waitcnt vmcnt(7)
	v_cndmask_b32_e64 v16, v16, -v16, s7
	s_waitcnt lgkmcnt(1)
	v_fmac_f32_e32 v26, v27, v15
	v_fmac_f32_e32 v20, v28, v15
	v_fma_f32 v15, -v28, v16, v26
	v_fmac_f32_e32 v20, v27, v16
	s_waitcnt vmcnt(6)
	v_cndmask_b32_e64 v16, v38, -v38, s7
	v_fmac_f32_e32 v15, v29, v37
	v_fmac_f32_e32 v20, v30, v37
	v_fma_f32 v15, -v30, v16, v15
	v_fmac_f32_e32 v20, v29, v16
	ds_read_b128 v[26:29], v22 offset:32
	s_waitcnt vmcnt(5)
	v_cndmask_b32_e64 v16, v36, -v36, s7
	s_waitcnt lgkmcnt(1)
	v_fmac_f32_e32 v15, v31, v35
	v_fmac_f32_e32 v20, v32, v35
	v_fma_f32 v15, -v32, v16, v15
	v_fmac_f32_e32 v20, v31, v16
	s_waitcnt vmcnt(4)
	v_cndmask_b32_e64 v16, v42, -v42, s7
	v_fmac_f32_e32 v15, v33, v41
	v_fmac_f32_e32 v20, v34, v41
	v_fma_f32 v15, -v34, v16, v15
	v_fmac_f32_e32 v20, v33, v16
	;; [unrolled: 14-line block ×3, first 2 shown]
	s_waitcnt vmcnt(1)
	v_cndmask_b32_e64 v16, v46, -v46, s7
	s_waitcnt lgkmcnt(0)
	v_fmac_f32_e32 v15, v30, v45
	v_fmac_f32_e32 v20, v31, v45
	v_fma_f32 v15, -v31, v16, v15
	v_fmac_f32_e32 v20, v30, v16
	s_waitcnt vmcnt(0)
	v_cndmask_b32_e64 v16, v48, -v48, s7
	v_fmac_f32_e32 v15, v32, v47
	v_fmac_f32_e32 v20, v33, v47
	v_fma_f32 v26, -v33, v16, v15
	v_fmac_f32_e32 v20, v32, v16
	s_branch .LBB7_6
.LBB7_11:
	s_or_b32 exec_lo, exec_lo, s9
.LBB7_12:
	s_or_b32 exec_lo, exec_lo, s6
	v_cmp_gt_i32_e32 vcc_lo, s30, v7
	s_and_b32 exec_lo, exec_lo, vcc_lo
	s_cbranch_execz .LBB7_23
; %bb.13:
	s_clause 0x1
	s_load_dwordx2 s[12:13], s[4:5], 0x70
	s_load_dwordx4 s[4:7], s[4:5], 0x60
	v_cmp_neq_f32_e32 vcc_lo, 0, v5
	v_cmp_neq_f32_e64 s0, 0, v6
	v_mul_f32_e64 v0, v20, -v10
	v_mul_f32_e32 v1, v9, v20
	s_or_b32 s1, vcc_lo, s0
	v_fmac_f32_e32 v0, v9, v26
	v_fmac_f32_e32 v1, v10, v26
	s_waitcnt lgkmcnt(0)
	s_cmp_lg_u32 s10, 1
	s_cselect_b32 s2, -1, 0
	s_mul_i32 s9, s12, s3
	s_mul_hi_u32 s10, s12, s8
	s_mul_i32 s3, s13, s8
	s_mul_i32 s0, s12, s8
	s_and_saveexec_b32 s8, s1
	s_xor_b32 s8, exec_lo, s8
	s_cbranch_execz .LBB7_18
; %bb.14:
	s_add_i32 s1, s10, s9
	s_and_b32 vcc_lo, exec_lo, s2
	s_add_i32 s1, s1, s3
	s_mov_b32 s11, -1
	s_cbranch_vccz .LBB7_16
; %bb.15:
	v_mad_u64_u32 v[2:3], null, s6, v18, 0
	v_lshlrev_b64 v[9:10], 3, v[7:8]
	s_lshl_b64 s[12:13], s[0:1], 3
	s_mov_b32 s11, 0
	v_mad_u64_u32 v[3:4], null, s7, v18, v[3:4]
	v_lshlrev_b64 v[2:3], 3, v[2:3]
	v_add_co_u32 v2, vcc_lo, s4, v2
	v_add_co_ci_u32_e64 v3, null, s5, v3, vcc_lo
	v_add_co_u32 v2, vcc_lo, v2, v9
	v_add_co_ci_u32_e64 v3, null, v3, v10, vcc_lo
	;; [unrolled: 2-line block ×3, first 2 shown]
	global_load_dwordx2 v[9:10], v[2:3], off
	s_waitcnt vmcnt(0)
	v_fma_f32 v4, v5, v9, v0
	v_fma_f32 v12, v6, v9, v1
	v_fma_f32 v11, -v6, v10, v4
	v_fmac_f32_e32 v12, v5, v10
	global_store_dwordx2 v[2:3], v[11:12], off
.LBB7_16:
	s_andn2_b32 vcc_lo, exec_lo, s11
                                        ; implicit-def: $vgpr18
	s_cbranch_vccnz .LBB7_18
; %bb.17:
	v_mul_lo_u32 v4, s7, v7
	v_mul_lo_u32 v8, s6, v8
	v_mad_u64_u32 v[2:3], null, s6, v7, 0
	s_lshl_b64 s[12:13], s[0:1], 3
                                        ; implicit-def: $vgpr18
	v_add3_u32 v3, v3, v8, v4
	v_lshlrev_b64 v[2:3], 3, v[2:3]
	v_add_co_u32 v2, vcc_lo, s4, v2
	v_add_co_ci_u32_e64 v3, null, s5, v3, vcc_lo
	v_add_co_u32 v2, vcc_lo, v2, v17
	v_add_co_ci_u32_e64 v3, null, 0, v3, vcc_lo
                                        ; implicit-def: $vgpr17
	v_add_co_u32 v2, vcc_lo, v2, s12
	v_add_co_ci_u32_e64 v3, null, s13, v3, vcc_lo
	global_load_dwordx2 v[7:8], v[2:3], off
	s_waitcnt vmcnt(0)
	v_fmac_f32_e32 v0, v5, v7
	v_fmac_f32_e32 v1, v6, v7
	v_fma_f32 v0, -v6, v8, v0
	v_fmac_f32_e32 v1, v5, v8
                                        ; implicit-def: $vgpr7_vgpr8
	global_store_dwordx2 v[2:3], v[0:1], off
                                        ; implicit-def: $vgpr0
.LBB7_18:
	s_andn2_saveexec_b32 s1, s8
	s_cbranch_execz .LBB7_23
; %bb.19:
	s_add_i32 s1, s10, s9
	s_and_b32 vcc_lo, exec_lo, s2
	s_add_i32 s1, s1, s3
	s_mov_b32 s2, -1
	s_cbranch_vccz .LBB7_21
; %bb.20:
	v_mad_u64_u32 v[2:3], null, s6, v18, 0
	s_lshl_b64 s[2:3], s[0:1], 3
	v_mad_u64_u32 v[3:4], null, s7, v18, v[3:4]
	v_lshlrev_b64 v[4:5], 3, v[7:8]
	v_lshlrev_b64 v[2:3], 3, v[2:3]
	v_add_co_u32 v2, vcc_lo, s4, v2
	v_add_co_ci_u32_e64 v3, null, s5, v3, vcc_lo
	v_add_co_u32 v2, vcc_lo, v2, v4
	v_add_co_ci_u32_e64 v3, null, v3, v5, vcc_lo
	;; [unrolled: 2-line block ×3, first 2 shown]
	s_mov_b32 s2, 0
	global_store_dwordx2 v[2:3], v[0:1], off
.LBB7_21:
	s_andn2_b32 vcc_lo, exec_lo, s2
	s_cbranch_vccnz .LBB7_23
; %bb.22:
	v_mul_lo_u32 v4, s7, v7
	v_mul_lo_u32 v5, s6, v8
	v_mad_u64_u32 v[2:3], null, s6, v7, 0
	s_lshl_b64 s[0:1], s[0:1], 3
	v_add3_u32 v3, v3, v5, v4
	v_lshlrev_b64 v[2:3], 3, v[2:3]
	v_add_co_u32 v2, vcc_lo, s4, v2
	v_add_co_ci_u32_e64 v3, null, s5, v3, vcc_lo
	v_add_co_u32 v2, vcc_lo, v2, v17
	v_add_co_ci_u32_e64 v3, null, 0, v3, vcc_lo
	;; [unrolled: 2-line block ×3, first 2 shown]
	global_store_dwordx2 v[2:3], v[0:1], off
.LBB7_23:
	s_endpgm
	.section	.rodata,"a",@progbits
	.p2align	6, 0x0
	.amdhsa_kernel _ZN9rocsparse31csrmmnn_row_split_shared_kernelILj256ELj8E21rocsparse_complex_numIfEliS2_S2_S2_EEvNS_24const_host_device_scalarIT1_EES5_bbbT3_S6_llPKT2_PKS6_PKT4_PKT5_llPT6_ll16rocsparse_order_21rocsparse_index_base_
		.amdhsa_group_segment_fixed_size 3072
		.amdhsa_private_segment_fixed_size 0
		.amdhsa_kernarg_size 128
		.amdhsa_user_sgpr_count 6
		.amdhsa_user_sgpr_private_segment_buffer 1
		.amdhsa_user_sgpr_dispatch_ptr 0
		.amdhsa_user_sgpr_queue_ptr 0
		.amdhsa_user_sgpr_kernarg_segment_ptr 1
		.amdhsa_user_sgpr_dispatch_id 0
		.amdhsa_user_sgpr_flat_scratch_init 0
		.amdhsa_user_sgpr_private_segment_size 0
		.amdhsa_wavefront_size32 1
		.amdhsa_uses_dynamic_stack 0
		.amdhsa_system_sgpr_private_segment_wavefront_offset 0
		.amdhsa_system_sgpr_workgroup_id_x 1
		.amdhsa_system_sgpr_workgroup_id_y 1
		.amdhsa_system_sgpr_workgroup_id_z 1
		.amdhsa_system_sgpr_workgroup_info 0
		.amdhsa_system_vgpr_workitem_id 0
		.amdhsa_next_free_vgpr 49
		.amdhsa_next_free_sgpr 32
		.amdhsa_reserve_vcc 1
		.amdhsa_reserve_flat_scratch 0
		.amdhsa_float_round_mode_32 0
		.amdhsa_float_round_mode_16_64 0
		.amdhsa_float_denorm_mode_32 3
		.amdhsa_float_denorm_mode_16_64 3
		.amdhsa_dx10_clamp 1
		.amdhsa_ieee_mode 1
		.amdhsa_fp16_overflow 0
		.amdhsa_workgroup_processor_mode 1
		.amdhsa_memory_ordered 1
		.amdhsa_forward_progress 1
		.amdhsa_shared_vgpr_count 0
		.amdhsa_exception_fp_ieee_invalid_op 0
		.amdhsa_exception_fp_denorm_src 0
		.amdhsa_exception_fp_ieee_div_zero 0
		.amdhsa_exception_fp_ieee_overflow 0
		.amdhsa_exception_fp_ieee_underflow 0
		.amdhsa_exception_fp_ieee_inexact 0
		.amdhsa_exception_int_div_zero 0
	.end_amdhsa_kernel
	.section	.text._ZN9rocsparse31csrmmnn_row_split_shared_kernelILj256ELj8E21rocsparse_complex_numIfEliS2_S2_S2_EEvNS_24const_host_device_scalarIT1_EES5_bbbT3_S6_llPKT2_PKS6_PKT4_PKT5_llPT6_ll16rocsparse_order_21rocsparse_index_base_,"axG",@progbits,_ZN9rocsparse31csrmmnn_row_split_shared_kernelILj256ELj8E21rocsparse_complex_numIfEliS2_S2_S2_EEvNS_24const_host_device_scalarIT1_EES5_bbbT3_S6_llPKT2_PKS6_PKT4_PKT5_llPT6_ll16rocsparse_order_21rocsparse_index_base_,comdat
.Lfunc_end7:
	.size	_ZN9rocsparse31csrmmnn_row_split_shared_kernelILj256ELj8E21rocsparse_complex_numIfEliS2_S2_S2_EEvNS_24const_host_device_scalarIT1_EES5_bbbT3_S6_llPKT2_PKS6_PKT4_PKT5_llPT6_ll16rocsparse_order_21rocsparse_index_base_, .Lfunc_end7-_ZN9rocsparse31csrmmnn_row_split_shared_kernelILj256ELj8E21rocsparse_complex_numIfEliS2_S2_S2_EEvNS_24const_host_device_scalarIT1_EES5_bbbT3_S6_llPKT2_PKS6_PKT4_PKT5_llPT6_ll16rocsparse_order_21rocsparse_index_base_
                                        ; -- End function
	.set _ZN9rocsparse31csrmmnn_row_split_shared_kernelILj256ELj8E21rocsparse_complex_numIfEliS2_S2_S2_EEvNS_24const_host_device_scalarIT1_EES5_bbbT3_S6_llPKT2_PKS6_PKT4_PKT5_llPT6_ll16rocsparse_order_21rocsparse_index_base_.num_vgpr, 49
	.set _ZN9rocsparse31csrmmnn_row_split_shared_kernelILj256ELj8E21rocsparse_complex_numIfEliS2_S2_S2_EEvNS_24const_host_device_scalarIT1_EES5_bbbT3_S6_llPKT2_PKS6_PKT4_PKT5_llPT6_ll16rocsparse_order_21rocsparse_index_base_.num_agpr, 0
	.set _ZN9rocsparse31csrmmnn_row_split_shared_kernelILj256ELj8E21rocsparse_complex_numIfEliS2_S2_S2_EEvNS_24const_host_device_scalarIT1_EES5_bbbT3_S6_llPKT2_PKS6_PKT4_PKT5_llPT6_ll16rocsparse_order_21rocsparse_index_base_.numbered_sgpr, 32
	.set _ZN9rocsparse31csrmmnn_row_split_shared_kernelILj256ELj8E21rocsparse_complex_numIfEliS2_S2_S2_EEvNS_24const_host_device_scalarIT1_EES5_bbbT3_S6_llPKT2_PKS6_PKT4_PKT5_llPT6_ll16rocsparse_order_21rocsparse_index_base_.num_named_barrier, 0
	.set _ZN9rocsparse31csrmmnn_row_split_shared_kernelILj256ELj8E21rocsparse_complex_numIfEliS2_S2_S2_EEvNS_24const_host_device_scalarIT1_EES5_bbbT3_S6_llPKT2_PKS6_PKT4_PKT5_llPT6_ll16rocsparse_order_21rocsparse_index_base_.private_seg_size, 0
	.set _ZN9rocsparse31csrmmnn_row_split_shared_kernelILj256ELj8E21rocsparse_complex_numIfEliS2_S2_S2_EEvNS_24const_host_device_scalarIT1_EES5_bbbT3_S6_llPKT2_PKS6_PKT4_PKT5_llPT6_ll16rocsparse_order_21rocsparse_index_base_.uses_vcc, 1
	.set _ZN9rocsparse31csrmmnn_row_split_shared_kernelILj256ELj8E21rocsparse_complex_numIfEliS2_S2_S2_EEvNS_24const_host_device_scalarIT1_EES5_bbbT3_S6_llPKT2_PKS6_PKT4_PKT5_llPT6_ll16rocsparse_order_21rocsparse_index_base_.uses_flat_scratch, 0
	.set _ZN9rocsparse31csrmmnn_row_split_shared_kernelILj256ELj8E21rocsparse_complex_numIfEliS2_S2_S2_EEvNS_24const_host_device_scalarIT1_EES5_bbbT3_S6_llPKT2_PKS6_PKT4_PKT5_llPT6_ll16rocsparse_order_21rocsparse_index_base_.has_dyn_sized_stack, 0
	.set _ZN9rocsparse31csrmmnn_row_split_shared_kernelILj256ELj8E21rocsparse_complex_numIfEliS2_S2_S2_EEvNS_24const_host_device_scalarIT1_EES5_bbbT3_S6_llPKT2_PKS6_PKT4_PKT5_llPT6_ll16rocsparse_order_21rocsparse_index_base_.has_recursion, 0
	.set _ZN9rocsparse31csrmmnn_row_split_shared_kernelILj256ELj8E21rocsparse_complex_numIfEliS2_S2_S2_EEvNS_24const_host_device_scalarIT1_EES5_bbbT3_S6_llPKT2_PKS6_PKT4_PKT5_llPT6_ll16rocsparse_order_21rocsparse_index_base_.has_indirect_call, 0
	.section	.AMDGPU.csdata,"",@progbits
; Kernel info:
; codeLenInByte = 2148
; TotalNumSgprs: 34
; NumVgprs: 49
; ScratchSize: 0
; MemoryBound: 0
; FloatMode: 240
; IeeeMode: 1
; LDSByteSize: 3072 bytes/workgroup (compile time only)
; SGPRBlocks: 0
; VGPRBlocks: 6
; NumSGPRsForWavesPerEU: 34
; NumVGPRsForWavesPerEU: 49
; Occupancy: 16
; WaveLimiterHint : 1
; COMPUTE_PGM_RSRC2:SCRATCH_EN: 0
; COMPUTE_PGM_RSRC2:USER_SGPR: 6
; COMPUTE_PGM_RSRC2:TRAP_HANDLER: 0
; COMPUTE_PGM_RSRC2:TGID_X_EN: 1
; COMPUTE_PGM_RSRC2:TGID_Y_EN: 1
; COMPUTE_PGM_RSRC2:TGID_Z_EN: 1
; COMPUTE_PGM_RSRC2:TIDIG_COMP_CNT: 0
	.section	.text._ZN9rocsparse31csrmmnn_row_split_shared_kernelILj256ELj8E21rocsparse_complex_numIfEllS2_S2_S2_EEvNS_24const_host_device_scalarIT1_EES5_bbbT3_S6_llPKT2_PKS6_PKT4_PKT5_llPT6_ll16rocsparse_order_21rocsparse_index_base_,"axG",@progbits,_ZN9rocsparse31csrmmnn_row_split_shared_kernelILj256ELj8E21rocsparse_complex_numIfEllS2_S2_S2_EEvNS_24const_host_device_scalarIT1_EES5_bbbT3_S6_llPKT2_PKS6_PKT4_PKT5_llPT6_ll16rocsparse_order_21rocsparse_index_base_,comdat
	.protected	_ZN9rocsparse31csrmmnn_row_split_shared_kernelILj256ELj8E21rocsparse_complex_numIfEllS2_S2_S2_EEvNS_24const_host_device_scalarIT1_EES5_bbbT3_S6_llPKT2_PKS6_PKT4_PKT5_llPT6_ll16rocsparse_order_21rocsparse_index_base_ ; -- Begin function _ZN9rocsparse31csrmmnn_row_split_shared_kernelILj256ELj8E21rocsparse_complex_numIfEllS2_S2_S2_EEvNS_24const_host_device_scalarIT1_EES5_bbbT3_S6_llPKT2_PKS6_PKT4_PKT5_llPT6_ll16rocsparse_order_21rocsparse_index_base_
	.globl	_ZN9rocsparse31csrmmnn_row_split_shared_kernelILj256ELj8E21rocsparse_complex_numIfEllS2_S2_S2_EEvNS_24const_host_device_scalarIT1_EES5_bbbT3_S6_llPKT2_PKS6_PKT4_PKT5_llPT6_ll16rocsparse_order_21rocsparse_index_base_
	.p2align	8
	.type	_ZN9rocsparse31csrmmnn_row_split_shared_kernelILj256ELj8E21rocsparse_complex_numIfEllS2_S2_S2_EEvNS_24const_host_device_scalarIT1_EES5_bbbT3_S6_llPKT2_PKS6_PKT4_PKT5_llPT6_ll16rocsparse_order_21rocsparse_index_base_,@function
_ZN9rocsparse31csrmmnn_row_split_shared_kernelILj256ELj8E21rocsparse_complex_numIfEllS2_S2_S2_EEvNS_24const_host_device_scalarIT1_EES5_bbbT3_S6_llPKT2_PKS6_PKT4_PKT5_llPT6_ll16rocsparse_order_21rocsparse_index_base_: ; @_ZN9rocsparse31csrmmnn_row_split_shared_kernelILj256ELj8E21rocsparse_complex_numIfEllS2_S2_S2_EEvNS_24const_host_device_scalarIT1_EES5_bbbT3_S6_llPKT2_PKS6_PKT4_PKT5_llPT6_ll16rocsparse_order_21rocsparse_index_base_
; %bb.0:
	s_clause 0x1
	s_load_dword s1, s[4:5], 0x10
	s_load_dwordx4 s[12:15], s[4:5], 0x0
	s_or_b32 s0, s4, 8
	s_waitcnt lgkmcnt(0)
	s_bitcmp1_b32 s1, 0
	s_cselect_b32 s2, s4, s12
	s_cselect_b32 s3, s5, s13
	v_mov_b32_e32 v1, s2
	v_mov_b32_e32 v2, s3
	s_cselect_b32 s0, s0, s14
	s_cselect_b32 s2, s5, s15
	flat_load_dwordx2 v[11:12], v[1:2]
	v_mov_b32_e32 v1, s0
	v_mov_b32_e32 v2, s2
	flat_load_dwordx2 v[5:6], v[1:2]
	s_waitcnt vmcnt(1) lgkmcnt(1)
	v_cmp_eq_f32_e32 vcc_lo, 0, v11
	v_cmp_eq_f32_e64 s0, 0, v12
	s_and_b32 s3, vcc_lo, s0
	s_mov_b32 s0, -1
	s_and_saveexec_b32 s2, s3
	s_cbranch_execz .LBB8_2
; %bb.1:
	s_waitcnt vmcnt(0) lgkmcnt(0)
	v_cmp_neq_f32_e32 vcc_lo, 1.0, v5
	v_cmp_neq_f32_e64 s0, 0, v6
	s_or_b32 s0, vcc_lo, s0
	s_orn2_b32 s0, s0, exec_lo
.LBB8_2:
	s_or_b32 exec_lo, exec_lo, s2
	s_and_saveexec_b32 s2, s0
	s_cbranch_execz .LBB8_23
; %bb.3:
	s_load_dwordx16 s[12:27], s[4:5], 0x18
	v_lshl_or_b32 v1, s6, 8, v0
	v_mov_b32_e32 v10, 0
	v_lshrrev_b32_e32 v9, 3, v1
	s_waitcnt lgkmcnt(0)
	v_cmp_gt_i64_e32 vcc_lo, s[12:13], v[9:10]
	s_and_b32 exec_lo, exec_lo, vcc_lo
	s_cbranch_execz .LBB8_23
; %bb.4:
	s_mul_i32 s0, s17, s8
	s_mul_hi_u32 s3, s16, s8
	s_mul_i32 s2, s16, s8
	s_add_i32 s3, s3, s0
	v_lshlrev_b32_e32 v21, 3, v9
	s_lshl_b64 s[2:3], s[2:3], 3
	v_and_b32_e32 v22, 7, v0
	s_add_u32 s2, s20, s2
	s_addc_u32 s3, s21, s3
	v_mov_b32_e32 v8, v10
	global_load_dwordx4 v[1:4], v21, s[2:3]
	s_clause 0x1
	s_load_dwordx8 s[36:43], s[4:5], 0x58
	s_load_dwordx4 s[28:31], s[4:5], 0x78
	v_lshl_or_b32 v7, s7, 3, v22
	v_mov_b32_e32 v28, v10
	s_mov_b32 s4, 0
	s_mov_b32 s3, exec_lo
	s_waitcnt vmcnt(0)
	v_cmpx_lt_i64_e64 v[1:2], v[3:4]
	s_cbranch_execz .LBB8_12
; %bb.5:
	s_waitcnt lgkmcnt(0)
	v_mad_u64_u32 v[13:14], null, s36, v7, 0
	v_lshlrev_b32_e32 v10, 3, v0
	v_sub_co_u32 v3, s0, v3, s31
	v_subrev_co_ci_u32_e64 v4, null, 0, v4, s0
	v_and_b32_e32 v23, 0x7c0, v10
	v_mov_b32_e32 v0, v14
	v_lshlrev_b32_e32 v17, 3, v22
	s_bitcmp1_b32 s1, 8
	s_mul_hi_u32 s2, s38, s8
	s_cselect_b32 vcc_lo, -1, 0
	v_mad_u64_u32 v[14:15], null, s37, v7, v[0:1]
	v_mad_u64_u32 v[15:16], null, s18, s8, v[1:2]
	v_sub_co_u32 v0, s0, v1, s31
	v_subrev_co_ci_u32_e64 v1, null, 0, v2, s0
	v_or_b32_e32 v2, 0x800, v23
	v_or_b32_e32 v24, v23, v17
	s_bitcmp1_b32 s1, 16
	s_mul_i32 s1, s39, s8
	s_cselect_b32 s5, -1, 0
	v_or_b32_e32 v25, v2, v17
	v_mad_u64_u32 v[16:17], null, s19, s8, v[16:17]
	s_add_i32 s7, s2, s1
	v_add_co_u32 v15, s1, v15, v22
	v_lshlrev_b64 v[13:14], 3, v[13:14]
	s_mul_i32 s6, s38, s8
	v_cmp_gt_i64_e64 s0, s[14:15], v[7:8]
	v_add_co_ci_u32_e64 v16, null, 0, v16, s1
	v_sub_co_u32 v15, s1, v15, s31
	s_lshl_b64 s[6:7], s[6:7], 3
	v_subrev_co_ci_u32_e64 v16, null, 0, v16, s1
	v_add_co_u32 v17, s1, s26, v13
	v_add_co_ci_u32_e64 v18, null, s27, v14, s1
	v_lshlrev_b64 v[13:14], 3, v[15:16]
	v_add_co_u32 v26, s1, v17, s6
	v_add_co_ci_u32_e64 v27, null, s7, v18, s1
	v_mov_b32_e32 v10, 0
	v_add_co_u32 v15, s1, s24, v13
	v_add_co_ci_u32_e64 v16, null, s25, v14, s1
	v_add_co_u32 v13, s1, s22, v13
	v_add_co_ci_u32_e64 v14, null, s23, v14, s1
	;; [unrolled: 2-line block ×3, first 2 shown]
	v_mov_b32_e32 v28, 0
	s_mov_b32 s6, s31
	s_branch .LBB8_7
.LBB8_6:                                ;   in Loop: Header=BB8_7 Depth=1
	s_or_b32 exec_lo, exec_lo, s2
	v_add_co_u32 v0, s1, v0, 8
	v_add_co_ci_u32_e64 v1, null, 0, v1, s1
	v_add_co_u32 v13, s1, v13, 64
	v_add_co_ci_u32_e64 v14, null, 0, v14, s1
	v_cmp_ge_i64_e64 s1, v[0:1], v[3:4]
	v_add_co_u32 v15, s2, v15, 64
	v_add_co_ci_u32_e64 v16, null, 0, v16, s2
	s_or_b32 s4, s1, s4
	s_andn2_b32 exec_lo, exec_lo, s4
	s_cbranch_execz .LBB8_11
.LBB8_7:                                ; =>This Inner Loop Header: Depth=1
	v_add_co_u32 v17, s1, v22, v0
	v_add_co_ci_u32_e64 v18, null, 0, v1, s1
	v_mov_b32_e32 v19, 0
	v_mov_b32_e32 v20, 0
	v_cmp_lt_i64_e64 s1, v[17:18], v[3:4]
	v_mov_b32_e32 v17, 0
	v_mov_b32_e32 v18, 0
	s_barrier
	buffer_gl0_inv
	s_and_saveexec_b32 s2, s1
	s_cbranch_execz .LBB8_9
; %bb.8:                                ;   in Loop: Header=BB8_7 Depth=1
	global_load_dwordx2 v[17:18], v[15:16], off offset:-4
	global_load_dwordx2 v[19:20], v[13:14], off
	s_waitcnt vmcnt(1)
	v_xor_b32_e32 v29, 0x80000000, v18
	s_waitcnt vmcnt(0)
	v_sub_co_u32 v19, s1, v19, s6
	v_subrev_co_ci_u32_e64 v20, null, 0, v20, s1
	v_cndmask_b32_e32 v18, v18, v29, vcc_lo
.LBB8_9:                                ;   in Loop: Header=BB8_7 Depth=1
	s_or_b32 exec_lo, exec_lo, s2
	ds_write_b64 v24, v[19:20]
	ds_write_b64 v25, v[17:18]
	s_waitcnt lgkmcnt(0)
	s_barrier
	buffer_gl0_inv
	s_and_saveexec_b32 s2, s0
	s_cbranch_execz .LBB8_6
; %bb.10:                               ;   in Loop: Header=BB8_7 Depth=1
	ds_read_b128 v[17:20], v23
	ds_read_b128 v[29:32], v23 offset:16
	s_waitcnt lgkmcnt(1)
	v_lshlrev_b64 v[17:18], 3, v[17:18]
	v_lshlrev_b64 v[19:20], 3, v[19:20]
	s_waitcnt lgkmcnt(0)
	v_lshlrev_b64 v[29:30], 3, v[29:30]
	v_lshlrev_b64 v[31:32], 3, v[31:32]
	v_add_co_u32 v17, s1, v26, v17
	v_add_co_ci_u32_e64 v18, null, v27, v18, s1
	v_add_co_u32 v35, s1, v26, v19
	v_add_co_ci_u32_e64 v36, null, v27, v20, s1
	global_load_dwordx2 v[33:34], v[17:18], off
	v_add_co_u32 v29, s1, v26, v29
	v_add_co_ci_u32_e64 v30, null, v27, v30, s1
	global_load_dwordx2 v[35:36], v[35:36], off
	v_add_co_u32 v39, s1, v26, v31
	global_load_dwordx2 v[37:38], v[29:30], off
	ds_read_b128 v[17:20], v23 offset:32
	v_add_co_ci_u32_e64 v40, null, v27, v32, s1
	ds_read_b128 v[29:32], v23 offset:48
	global_load_dwordx2 v[39:40], v[39:40], off
	s_waitcnt lgkmcnt(1)
	v_lshlrev_b64 v[17:18], 3, v[17:18]
	v_lshlrev_b64 v[19:20], 3, v[19:20]
	v_add_co_u32 v17, s1, v26, v17
	v_add_co_ci_u32_e64 v18, null, v27, v18, s1
	global_load_dwordx2 v[41:42], v[17:18], off
	v_add_co_u32 v17, s1, v26, v19
	v_add_co_ci_u32_e64 v18, null, v27, v20, s1
	s_waitcnt lgkmcnt(0)
	v_lshlrev_b64 v[19:20], 3, v[29:30]
	global_load_dwordx2 v[43:44], v[17:18], off
	v_add_co_u32 v17, s1, v26, v19
	v_add_co_ci_u32_e64 v18, null, v27, v20, s1
	v_lshlrev_b64 v[19:20], 3, v[31:32]
	global_load_dwordx2 v[45:46], v[17:18], off
	v_add_co_u32 v17, s1, v26, v19
	v_add_co_ci_u32_e64 v18, null, v27, v20, s1
	global_load_dwordx2 v[47:48], v[17:18], off
	ds_read_b128 v[17:20], v2
	ds_read_b128 v[29:32], v2 offset:16
	s_waitcnt vmcnt(7)
	v_cndmask_b32_e64 v34, v34, -v34, s5
	s_waitcnt lgkmcnt(1)
	v_fmac_f32_e32 v28, v17, v33
	v_fmac_f32_e32 v10, v18, v33
	v_fma_f32 v18, -v18, v34, v28
	v_fmac_f32_e32 v10, v17, v34
	s_waitcnt vmcnt(6)
	v_cndmask_b32_e64 v17, v36, -v36, s5
	s_waitcnt vmcnt(5)
	v_cndmask_b32_e64 v33, v38, -v38, s5
	v_fmac_f32_e32 v18, v19, v35
	v_fmac_f32_e32 v10, v20, v35
	v_fma_f32 v28, -v20, v17, v18
	v_fmac_f32_e32 v10, v19, v17
	ds_read_b128 v[17:20], v2 offset:32
	s_waitcnt lgkmcnt(1)
	v_fmac_f32_e32 v28, v29, v37
	v_fmac_f32_e32 v10, v30, v37
	v_fma_f32 v28, -v30, v33, v28
	v_fmac_f32_e32 v10, v29, v33
	s_waitcnt vmcnt(4)
	v_cndmask_b32_e64 v29, v40, -v40, s5
	v_fmac_f32_e32 v28, v31, v39
	v_fmac_f32_e32 v10, v32, v39
	v_fma_f32 v32, -v32, v29, v28
	v_fmac_f32_e32 v10, v31, v29
	ds_read_b128 v[28:31], v2 offset:48
	s_waitcnt vmcnt(3)
	v_cndmask_b32_e64 v33, v42, -v42, s5
	s_waitcnt lgkmcnt(1)
	v_fmac_f32_e32 v32, v17, v41
	v_fmac_f32_e32 v10, v18, v41
	v_fma_f32 v18, -v18, v33, v32
	v_fmac_f32_e32 v10, v17, v33
	s_waitcnt vmcnt(2)
	v_cndmask_b32_e64 v17, v44, -v44, s5
	v_fmac_f32_e32 v18, v19, v43
	v_fmac_f32_e32 v10, v20, v43
	v_fma_f32 v18, -v20, v17, v18
	v_fmac_f32_e32 v10, v19, v17
	s_waitcnt vmcnt(1)
	v_cndmask_b32_e64 v17, v46, -v46, s5
	s_waitcnt lgkmcnt(0)
	v_fmac_f32_e32 v18, v28, v45
	v_fmac_f32_e32 v10, v29, v45
	v_fma_f32 v18, -v29, v17, v18
	v_fmac_f32_e32 v10, v28, v17
	s_waitcnt vmcnt(0)
	v_cndmask_b32_e64 v17, v48, -v48, s5
	v_fmac_f32_e32 v18, v30, v47
	v_fmac_f32_e32 v10, v31, v47
	v_fma_f32 v28, -v31, v17, v18
	v_fmac_f32_e32 v10, v30, v17
	s_branch .LBB8_6
.LBB8_11:
	s_or_b32 exec_lo, exec_lo, s4
.LBB8_12:
	s_or_b32 exec_lo, exec_lo, s3
	v_cmp_gt_i64_e32 vcc_lo, s[14:15], v[7:8]
	s_and_b32 exec_lo, exec_lo, vcc_lo
	s_cbranch_execz .LBB8_23
; %bb.13:
	v_cmp_neq_f32_e32 vcc_lo, 0, v5
	v_cmp_neq_f32_e64 s0, 0, v6
	v_mul_f32_e64 v0, v10, -v12
	v_mul_f32_e32 v1, v11, v10
	s_waitcnt lgkmcnt(0)
	s_mul_i32 s3, s29, s8
	s_mul_hi_u32 s4, s28, s8
	s_or_b32 s1, vcc_lo, s0
	v_fmac_f32_e32 v0, v11, v28
	v_fmac_f32_e32 v1, v12, v28
	s_cmp_lg_u32 s30, 1
	s_mul_i32 s0, s28, s8
	s_cselect_b32 s2, -1, 0
	s_and_saveexec_b32 s5, s1
	s_xor_b32 s5, exec_lo, s5
	s_cbranch_execz .LBB8_18
; %bb.14:
	s_add_i32 s1, s4, s3
	s_and_b32 vcc_lo, exec_lo, s2
	s_mov_b32 s6, -1
	s_cbranch_vccz .LBB8_16
; %bb.15:
	v_mad_u64_u32 v[2:3], null, s42, v9, 0
	s_lshl_b64 s[6:7], s[0:1], 3
	v_mad_u64_u32 v[3:4], null, s43, v9, v[3:4]
	v_lshlrev_b64 v[8:9], 3, v[7:8]
	v_lshlrev_b64 v[2:3], 3, v[2:3]
	v_add_co_u32 v2, vcc_lo, s40, v2
	v_add_co_ci_u32_e64 v3, null, s41, v3, vcc_lo
	v_add_co_u32 v2, vcc_lo, v2, v8
	v_add_co_ci_u32_e64 v3, null, v3, v9, vcc_lo
	;; [unrolled: 2-line block ×3, first 2 shown]
	s_mov_b32 s6, 0
	global_load_dwordx2 v[8:9], v[2:3], off
	s_waitcnt vmcnt(0)
	v_fma_f32 v4, v5, v8, v0
	v_fma_f32 v11, v6, v8, v1
	v_fma_f32 v10, -v6, v9, v4
	v_fmac_f32_e32 v11, v5, v9
	global_store_dwordx2 v[2:3], v[10:11], off
.LBB8_16:
	s_andn2_b32 vcc_lo, exec_lo, s6
                                        ; implicit-def: $vgpr9_vgpr10
	s_cbranch_vccnz .LBB8_18
; %bb.17:
	v_mad_u64_u32 v[2:3], null, s42, v7, 0
	s_lshl_b64 s[6:7], s[0:1], 3
                                        ; implicit-def: $vgpr9_vgpr10
	v_mad_u64_u32 v[3:4], null, s43, v7, v[3:4]
	v_lshlrev_b64 v[2:3], 3, v[2:3]
	v_add_co_u32 v2, vcc_lo, s40, v2
	v_add_co_ci_u32_e64 v3, null, s41, v3, vcc_lo
	v_add_co_u32 v2, vcc_lo, v2, v21
	v_add_co_ci_u32_e64 v3, null, 0, v3, vcc_lo
                                        ; implicit-def: $vgpr21
	v_add_co_u32 v2, vcc_lo, v2, s6
	v_add_co_ci_u32_e64 v3, null, s7, v3, vcc_lo
	global_load_dwordx2 v[7:8], v[2:3], off
	s_waitcnt vmcnt(0)
	v_fmac_f32_e32 v0, v5, v7
	v_fmac_f32_e32 v1, v6, v7
	v_fma_f32 v0, -v6, v8, v0
	v_fmac_f32_e32 v1, v5, v8
                                        ; implicit-def: $vgpr7_vgpr8
	global_store_dwordx2 v[2:3], v[0:1], off
                                        ; implicit-def: $vgpr0
.LBB8_18:
	s_andn2_saveexec_b32 s1, s5
	s_cbranch_execz .LBB8_23
; %bb.19:
	s_add_i32 s1, s4, s3
	s_and_b32 vcc_lo, exec_lo, s2
	s_mov_b32 s2, -1
	s_cbranch_vccz .LBB8_21
; %bb.20:
	v_mad_u64_u32 v[2:3], null, s42, v9, 0
	s_lshl_b64 s[2:3], s[0:1], 3
	v_mad_u64_u32 v[3:4], null, s43, v9, v[3:4]
	v_lshlrev_b64 v[4:5], 3, v[7:8]
	v_lshlrev_b64 v[2:3], 3, v[2:3]
	v_add_co_u32 v2, vcc_lo, s40, v2
	v_add_co_ci_u32_e64 v3, null, s41, v3, vcc_lo
	v_add_co_u32 v2, vcc_lo, v2, v4
	v_add_co_ci_u32_e64 v3, null, v3, v5, vcc_lo
	;; [unrolled: 2-line block ×3, first 2 shown]
	s_mov_b32 s2, 0
	global_store_dwordx2 v[2:3], v[0:1], off
.LBB8_21:
	s_andn2_b32 vcc_lo, exec_lo, s2
	s_cbranch_vccnz .LBB8_23
; %bb.22:
	v_mad_u64_u32 v[2:3], null, s42, v7, 0
	s_lshl_b64 s[0:1], s[0:1], 3
	v_mad_u64_u32 v[3:4], null, s43, v7, v[3:4]
	v_lshlrev_b64 v[2:3], 3, v[2:3]
	v_add_co_u32 v2, vcc_lo, s40, v2
	v_add_co_ci_u32_e64 v3, null, s41, v3, vcc_lo
	v_add_co_u32 v2, vcc_lo, v2, v21
	v_add_co_ci_u32_e64 v3, null, 0, v3, vcc_lo
	;; [unrolled: 2-line block ×3, first 2 shown]
	global_store_dwordx2 v[2:3], v[0:1], off
.LBB8_23:
	s_endpgm
	.section	.rodata,"a",@progbits
	.p2align	6, 0x0
	.amdhsa_kernel _ZN9rocsparse31csrmmnn_row_split_shared_kernelILj256ELj8E21rocsparse_complex_numIfEllS2_S2_S2_EEvNS_24const_host_device_scalarIT1_EES5_bbbT3_S6_llPKT2_PKS6_PKT4_PKT5_llPT6_ll16rocsparse_order_21rocsparse_index_base_
		.amdhsa_group_segment_fixed_size 4096
		.amdhsa_private_segment_fixed_size 0
		.amdhsa_kernarg_size 136
		.amdhsa_user_sgpr_count 6
		.amdhsa_user_sgpr_private_segment_buffer 1
		.amdhsa_user_sgpr_dispatch_ptr 0
		.amdhsa_user_sgpr_queue_ptr 0
		.amdhsa_user_sgpr_kernarg_segment_ptr 1
		.amdhsa_user_sgpr_dispatch_id 0
		.amdhsa_user_sgpr_flat_scratch_init 0
		.amdhsa_user_sgpr_private_segment_size 0
		.amdhsa_wavefront_size32 1
		.amdhsa_uses_dynamic_stack 0
		.amdhsa_system_sgpr_private_segment_wavefront_offset 0
		.amdhsa_system_sgpr_workgroup_id_x 1
		.amdhsa_system_sgpr_workgroup_id_y 1
		.amdhsa_system_sgpr_workgroup_id_z 1
		.amdhsa_system_sgpr_workgroup_info 0
		.amdhsa_system_vgpr_workitem_id 0
		.amdhsa_next_free_vgpr 49
		.amdhsa_next_free_sgpr 44
		.amdhsa_reserve_vcc 1
		.amdhsa_reserve_flat_scratch 0
		.amdhsa_float_round_mode_32 0
		.amdhsa_float_round_mode_16_64 0
		.amdhsa_float_denorm_mode_32 3
		.amdhsa_float_denorm_mode_16_64 3
		.amdhsa_dx10_clamp 1
		.amdhsa_ieee_mode 1
		.amdhsa_fp16_overflow 0
		.amdhsa_workgroup_processor_mode 1
		.amdhsa_memory_ordered 1
		.amdhsa_forward_progress 1
		.amdhsa_shared_vgpr_count 0
		.amdhsa_exception_fp_ieee_invalid_op 0
		.amdhsa_exception_fp_denorm_src 0
		.amdhsa_exception_fp_ieee_div_zero 0
		.amdhsa_exception_fp_ieee_overflow 0
		.amdhsa_exception_fp_ieee_underflow 0
		.amdhsa_exception_fp_ieee_inexact 0
		.amdhsa_exception_int_div_zero 0
	.end_amdhsa_kernel
	.section	.text._ZN9rocsparse31csrmmnn_row_split_shared_kernelILj256ELj8E21rocsparse_complex_numIfEllS2_S2_S2_EEvNS_24const_host_device_scalarIT1_EES5_bbbT3_S6_llPKT2_PKS6_PKT4_PKT5_llPT6_ll16rocsparse_order_21rocsparse_index_base_,"axG",@progbits,_ZN9rocsparse31csrmmnn_row_split_shared_kernelILj256ELj8E21rocsparse_complex_numIfEllS2_S2_S2_EEvNS_24const_host_device_scalarIT1_EES5_bbbT3_S6_llPKT2_PKS6_PKT4_PKT5_llPT6_ll16rocsparse_order_21rocsparse_index_base_,comdat
.Lfunc_end8:
	.size	_ZN9rocsparse31csrmmnn_row_split_shared_kernelILj256ELj8E21rocsparse_complex_numIfEllS2_S2_S2_EEvNS_24const_host_device_scalarIT1_EES5_bbbT3_S6_llPKT2_PKS6_PKT4_PKT5_llPT6_ll16rocsparse_order_21rocsparse_index_base_, .Lfunc_end8-_ZN9rocsparse31csrmmnn_row_split_shared_kernelILj256ELj8E21rocsparse_complex_numIfEllS2_S2_S2_EEvNS_24const_host_device_scalarIT1_EES5_bbbT3_S6_llPKT2_PKS6_PKT4_PKT5_llPT6_ll16rocsparse_order_21rocsparse_index_base_
                                        ; -- End function
	.set _ZN9rocsparse31csrmmnn_row_split_shared_kernelILj256ELj8E21rocsparse_complex_numIfEllS2_S2_S2_EEvNS_24const_host_device_scalarIT1_EES5_bbbT3_S6_llPKT2_PKS6_PKT4_PKT5_llPT6_ll16rocsparse_order_21rocsparse_index_base_.num_vgpr, 49
	.set _ZN9rocsparse31csrmmnn_row_split_shared_kernelILj256ELj8E21rocsparse_complex_numIfEllS2_S2_S2_EEvNS_24const_host_device_scalarIT1_EES5_bbbT3_S6_llPKT2_PKS6_PKT4_PKT5_llPT6_ll16rocsparse_order_21rocsparse_index_base_.num_agpr, 0
	.set _ZN9rocsparse31csrmmnn_row_split_shared_kernelILj256ELj8E21rocsparse_complex_numIfEllS2_S2_S2_EEvNS_24const_host_device_scalarIT1_EES5_bbbT3_S6_llPKT2_PKS6_PKT4_PKT5_llPT6_ll16rocsparse_order_21rocsparse_index_base_.numbered_sgpr, 44
	.set _ZN9rocsparse31csrmmnn_row_split_shared_kernelILj256ELj8E21rocsparse_complex_numIfEllS2_S2_S2_EEvNS_24const_host_device_scalarIT1_EES5_bbbT3_S6_llPKT2_PKS6_PKT4_PKT5_llPT6_ll16rocsparse_order_21rocsparse_index_base_.num_named_barrier, 0
	.set _ZN9rocsparse31csrmmnn_row_split_shared_kernelILj256ELj8E21rocsparse_complex_numIfEllS2_S2_S2_EEvNS_24const_host_device_scalarIT1_EES5_bbbT3_S6_llPKT2_PKS6_PKT4_PKT5_llPT6_ll16rocsparse_order_21rocsparse_index_base_.private_seg_size, 0
	.set _ZN9rocsparse31csrmmnn_row_split_shared_kernelILj256ELj8E21rocsparse_complex_numIfEllS2_S2_S2_EEvNS_24const_host_device_scalarIT1_EES5_bbbT3_S6_llPKT2_PKS6_PKT4_PKT5_llPT6_ll16rocsparse_order_21rocsparse_index_base_.uses_vcc, 1
	.set _ZN9rocsparse31csrmmnn_row_split_shared_kernelILj256ELj8E21rocsparse_complex_numIfEllS2_S2_S2_EEvNS_24const_host_device_scalarIT1_EES5_bbbT3_S6_llPKT2_PKS6_PKT4_PKT5_llPT6_ll16rocsparse_order_21rocsparse_index_base_.uses_flat_scratch, 0
	.set _ZN9rocsparse31csrmmnn_row_split_shared_kernelILj256ELj8E21rocsparse_complex_numIfEllS2_S2_S2_EEvNS_24const_host_device_scalarIT1_EES5_bbbT3_S6_llPKT2_PKS6_PKT4_PKT5_llPT6_ll16rocsparse_order_21rocsparse_index_base_.has_dyn_sized_stack, 0
	.set _ZN9rocsparse31csrmmnn_row_split_shared_kernelILj256ELj8E21rocsparse_complex_numIfEllS2_S2_S2_EEvNS_24const_host_device_scalarIT1_EES5_bbbT3_S6_llPKT2_PKS6_PKT4_PKT5_llPT6_ll16rocsparse_order_21rocsparse_index_base_.has_recursion, 0
	.set _ZN9rocsparse31csrmmnn_row_split_shared_kernelILj256ELj8E21rocsparse_complex_numIfEllS2_S2_S2_EEvNS_24const_host_device_scalarIT1_EES5_bbbT3_S6_llPKT2_PKS6_PKT4_PKT5_llPT6_ll16rocsparse_order_21rocsparse_index_base_.has_indirect_call, 0
	.section	.AMDGPU.csdata,"",@progbits
; Kernel info:
; codeLenInByte = 2008
; TotalNumSgprs: 46
; NumVgprs: 49
; ScratchSize: 0
; MemoryBound: 0
; FloatMode: 240
; IeeeMode: 1
; LDSByteSize: 4096 bytes/workgroup (compile time only)
; SGPRBlocks: 0
; VGPRBlocks: 6
; NumSGPRsForWavesPerEU: 46
; NumVGPRsForWavesPerEU: 49
; Occupancy: 16
; WaveLimiterHint : 0
; COMPUTE_PGM_RSRC2:SCRATCH_EN: 0
; COMPUTE_PGM_RSRC2:USER_SGPR: 6
; COMPUTE_PGM_RSRC2:TRAP_HANDLER: 0
; COMPUTE_PGM_RSRC2:TGID_X_EN: 1
; COMPUTE_PGM_RSRC2:TGID_Y_EN: 1
; COMPUTE_PGM_RSRC2:TGID_Z_EN: 1
; COMPUTE_PGM_RSRC2:TIDIG_COMP_CNT: 0
	.section	.text._ZN9rocsparse31csrmmnn_row_split_shared_kernelILj256ELj8E21rocsparse_complex_numIdEiiS2_S2_S2_EEvNS_24const_host_device_scalarIT1_EES5_bbbT3_S6_llPKT2_PKS6_PKT4_PKT5_llPT6_ll16rocsparse_order_21rocsparse_index_base_,"axG",@progbits,_ZN9rocsparse31csrmmnn_row_split_shared_kernelILj256ELj8E21rocsparse_complex_numIdEiiS2_S2_S2_EEvNS_24const_host_device_scalarIT1_EES5_bbbT3_S6_llPKT2_PKS6_PKT4_PKT5_llPT6_ll16rocsparse_order_21rocsparse_index_base_,comdat
	.protected	_ZN9rocsparse31csrmmnn_row_split_shared_kernelILj256ELj8E21rocsparse_complex_numIdEiiS2_S2_S2_EEvNS_24const_host_device_scalarIT1_EES5_bbbT3_S6_llPKT2_PKS6_PKT4_PKT5_llPT6_ll16rocsparse_order_21rocsparse_index_base_ ; -- Begin function _ZN9rocsparse31csrmmnn_row_split_shared_kernelILj256ELj8E21rocsparse_complex_numIdEiiS2_S2_S2_EEvNS_24const_host_device_scalarIT1_EES5_bbbT3_S6_llPKT2_PKS6_PKT4_PKT5_llPT6_ll16rocsparse_order_21rocsparse_index_base_
	.globl	_ZN9rocsparse31csrmmnn_row_split_shared_kernelILj256ELj8E21rocsparse_complex_numIdEiiS2_S2_S2_EEvNS_24const_host_device_scalarIT1_EES5_bbbT3_S6_llPKT2_PKS6_PKT4_PKT5_llPT6_ll16rocsparse_order_21rocsparse_index_base_
	.p2align	8
	.type	_ZN9rocsparse31csrmmnn_row_split_shared_kernelILj256ELj8E21rocsparse_complex_numIdEiiS2_S2_S2_EEvNS_24const_host_device_scalarIT1_EES5_bbbT3_S6_llPKT2_PKS6_PKT4_PKT5_llPT6_ll16rocsparse_order_21rocsparse_index_base_,@function
_ZN9rocsparse31csrmmnn_row_split_shared_kernelILj256ELj8E21rocsparse_complex_numIdEiiS2_S2_S2_EEvNS_24const_host_device_scalarIT1_EES5_bbbT3_S6_llPKT2_PKS6_PKT4_PKT5_llPT6_ll16rocsparse_order_21rocsparse_index_base_: ; @_ZN9rocsparse31csrmmnn_row_split_shared_kernelILj256ELj8E21rocsparse_complex_numIdEiiS2_S2_S2_EEvNS_24const_host_device_scalarIT1_EES5_bbbT3_S6_llPKT2_PKS6_PKT4_PKT5_llPT6_ll16rocsparse_order_21rocsparse_index_base_
; %bb.0:
	s_clause 0x1
	s_load_dword s1, s[4:5], 0x20
	s_load_dwordx2 s[2:3], s[4:5], 0x0
	s_add_u32 s0, s4, 16
	s_addc_u32 s9, s5, 0
	s_load_dwordx2 s[10:11], s[4:5], 0x10
	s_waitcnt lgkmcnt(0)
	s_bitcmp1_b32 s1, 0
	s_cselect_b32 s2, s4, s2
	s_cselect_b32 s3, s5, s3
	v_mov_b32_e32 v1, s2
	v_mov_b32_e32 v2, s3
	s_cselect_b32 s0, s0, s10
	s_cselect_b32 s2, s9, s11
	flat_load_dwordx4 v[5:8], v[1:2]
	v_mov_b32_e32 v1, s0
	v_mov_b32_e32 v2, s2
	flat_load_dwordx4 v[1:4], v[1:2]
	s_waitcnt vmcnt(1) lgkmcnt(1)
	v_cmp_eq_f64_e32 vcc_lo, 0, v[5:6]
	v_cmp_eq_f64_e64 s0, 0, v[7:8]
	s_and_b32 s3, vcc_lo, s0
	s_mov_b32 s0, -1
	s_and_saveexec_b32 s2, s3
	s_cbranch_execz .LBB9_2
; %bb.1:
	s_waitcnt vmcnt(0) lgkmcnt(0)
	v_cmp_neq_f64_e32 vcc_lo, 1.0, v[1:2]
	v_cmp_neq_f64_e64 s0, 0, v[3:4]
	s_or_b32 s0, vcc_lo, s0
	s_orn2_b32 s0, s0, exec_lo
.LBB9_2:
	s_or_b32 exec_lo, exec_lo, s2
	s_and_saveexec_b32 s2, s0
	s_cbranch_execz .LBB9_23
; %bb.3:
	s_load_dwordx4 s[28:31], s[4:5], 0x20
	v_lshl_or_b32 v9, s6, 8, v0
	v_lshrrev_b32_e32 v13, 3, v9
	s_waitcnt lgkmcnt(0)
	v_cmp_gt_i32_e32 vcc_lo, s29, v13
	s_and_b32 exec_lo, exec_lo, vcc_lo
	s_cbranch_execz .LBB9_23
; %bb.4:
	s_load_dwordx16 s[12:27], s[4:5], 0x30
	s_ashr_i32 s3, s8, 31
	v_lshlrev_b32_e32 v9, 2, v13
	v_and_b32_e32 v21, 7, v0
	v_mov_b32_e32 v19, 0
	v_mov_b32_e32 v17, 0
	;; [unrolled: 1-line block ×4, first 2 shown]
	v_lshl_or_b32 v15, s7, 3, v21
	v_mov_b32_e32 v18, 0
	v_ashrrev_i32_e32 v16, 31, v15
	s_waitcnt lgkmcnt(0)
	s_mul_hi_u32 s0, s12, s8
	s_mul_i32 s2, s12, s3
	s_mul_i32 s6, s13, s8
	s_add_i32 s0, s0, s2
	s_mul_i32 s10, s12, s8
	s_add_i32 s11, s0, s6
	s_mov_b32 s6, exec_lo
	s_lshl_b64 s[10:11], s[10:11], 2
	s_add_u32 s10, s16, s10
	s_addc_u32 s11, s17, s11
	global_load_dwordx2 v[9:10], v9, s[10:11]
	s_load_dwordx2 s[10:11], s[4:5], 0x88
	s_waitcnt vmcnt(0)
	v_cmpx_lt_i32_e64 v9, v10
	s_cbranch_execz .LBB9_12
; %bb.5:
	v_mul_lo_u32 v18, s25, v15
	v_mul_lo_u32 v19, s24, v16
	v_mad_u64_u32 v[11:12], null, s24, v15, 0
	s_bitcmp1_b32 s1, 8
	v_lshrrev_b32_e32 v17, 3, v0
	s_waitcnt lgkmcnt(0)
	v_subrev_nc_u32_e32 v0, s11, v10
	s_cselect_b32 vcc_lo, -1, 0
	s_bitcmp1_b32 s28, 16
	v_subrev_nc_u32_e32 v23, s11, v9
	v_add3_u32 v12, v12, v19, v18
	s_mul_i32 s1, s14, s3
	s_mul_hi_u32 s2, s14, s8
	s_cselect_b32 s0, -1, 0
	s_add_i32 s7, s2, s1
	v_lshlrev_b64 v[9:10], 4, v[11:12]
	s_mul_i32 s1, s26, s3
	s_mul_hi_u32 s2, s26, s8
	s_mul_i32 s12, s27, s8
	s_add_i32 s2, s2, s1
	v_lshl_or_b32 v22, v17, 5, 0x1000
	s_add_i32 s13, s2, s12
	v_add_co_u32 v9, s2, s22, v9
	s_mul_i32 s12, s26, s8
	v_lshlrev_b32_e32 v24, 7, v17
	v_add_co_ci_u32_e64 v10, null, s23, v10, s2
	s_lshl_b64 s[12:13], s[12:13], 4
	v_mov_b32_e32 v19, 0
	v_add_co_u32 v27, s2, v9, s12
	v_mov_b32_e32 v17, 0
	v_lshl_or_b32 v25, v21, 2, v22
	v_lshl_or_b32 v26, v21, 4, v24
	v_cmp_gt_i32_e64 s1, s30, v15
	v_mov_b32_e32 v20, 0
	v_mov_b32_e32 v18, 0
	v_add_co_ci_u32_e64 v28, null, s13, v10, s2
	s_mul_i32 s9, s15, s8
	s_mul_i32 s12, s14, s8
	s_add_i32 s7, s7, s9
	s_mov_b32 s9, 0
	s_branch .LBB9_7
.LBB9_6:                                ;   in Loop: Header=BB9_7 Depth=1
	s_or_b32 exec_lo, exec_lo, s13
	v_add_nc_u32_e32 v23, 8, v23
	v_cmp_ge_i32_e64 s2, v23, v0
	s_or_b32 s9, s2, s9
	s_andn2_b32 exec_lo, exec_lo, s9
	s_cbranch_execz .LBB9_11
.LBB9_7:                                ; =>This Inner Loop Header: Depth=1
	v_mov_b32_e32 v9, 0
	v_mov_b32_e32 v11, 0
	v_add_nc_u32_e32 v30, v21, v23
	v_mov_b32_e32 v10, 0
	v_mov_b32_e32 v12, 0
	;; [unrolled: 1-line block ×3, first 2 shown]
	s_mov_b32 s13, exec_lo
	s_barrier
	buffer_gl0_inv
	v_cmpx_lt_i32_e64 v30, v0
	s_cbranch_execz .LBB9_9
; %bb.8:                                ;   in Loop: Header=BB9_7 Depth=1
	v_ashrrev_i32_e32 v10, 31, v30
	v_add_co_u32 v9, s2, s12, v30
	v_add_co_ci_u32_e64 v10, null, s7, v10, s2
	v_lshlrev_b64 v[11:12], 4, v[9:10]
	v_lshlrev_b64 v[9:10], 2, v[9:10]
	v_add_co_u32 v11, s2, s20, v11
	v_add_co_ci_u32_e64 v12, null, s21, v12, s2
	v_add_co_u32 v29, s2, s18, v9
	v_add_co_ci_u32_e64 v30, null, s19, v10, s2
	global_load_dwordx4 v[9:12], v[11:12], off
	global_load_dword v29, v[29:30], off
	s_waitcnt vmcnt(1)
	v_xor_b32_e32 v30, 0x80000000, v12
	s_waitcnt vmcnt(0)
	v_subrev_nc_u32_e32 v29, s11, v29
	v_cndmask_b32_e32 v12, v12, v30, vcc_lo
.LBB9_9:                                ;   in Loop: Header=BB9_7 Depth=1
	s_or_b32 exec_lo, exec_lo, s13
	ds_write_b32 v25, v29
	ds_write_b128 v26, v[9:12]
	s_waitcnt lgkmcnt(0)
	s_barrier
	buffer_gl0_inv
	s_and_saveexec_b32 s13, s1
	s_cbranch_execz .LBB9_6
; %bb.10:                               ;   in Loop: Header=BB9_7 Depth=1
	ds_read_b128 v[9:12], v22
	ds_read_b128 v[29:32], v22 offset:16
	ds_read_b128 v[61:64], v24 offset:16
	s_waitcnt lgkmcnt(2)
	v_ashrrev_i32_e32 v34, 31, v9
	v_mov_b32_e32 v33, v9
	v_ashrrev_i32_e32 v38, 31, v10
	v_mov_b32_e32 v37, v10
	s_waitcnt lgkmcnt(1)
	v_ashrrev_i32_e32 v46, 31, v29
	v_mov_b32_e32 v45, v29
	v_lshlrev_b64 v[33:34], 4, v[33:34]
	v_ashrrev_i32_e32 v50, 31, v30
	v_lshlrev_b64 v[9:10], 4, v[37:38]
	v_mov_b32_e32 v49, v30
	v_lshlrev_b64 v[45:46], 4, v[45:46]
	v_add_co_u32 v33, s2, v27, v33
	v_add_co_ci_u32_e64 v34, null, v28, v34, s2
	v_add_co_u32 v9, s2, v27, v9
	v_add_co_ci_u32_e64 v10, null, v28, v10, s2
	global_load_dwordx4 v[33:36], v[33:34], off
	v_lshlrev_b64 v[29:30], 4, v[49:50]
	global_load_dwordx4 v[37:40], v[9:10], off
	v_ashrrev_i32_e32 v10, 31, v11
	v_mov_b32_e32 v9, v11
	v_lshlrev_b64 v[9:10], 4, v[9:10]
	v_add_co_u32 v9, s2, v27, v9
	v_add_co_ci_u32_e64 v10, null, v28, v10, s2
	global_load_dwordx4 v[41:44], v[9:10], off
	v_ashrrev_i32_e32 v10, 31, v12
	v_mov_b32_e32 v9, v12
	v_lshlrev_b64 v[9:10], 4, v[9:10]
	v_add_co_u32 v9, s2, v27, v9
	v_add_co_ci_u32_e64 v10, null, v28, v10, s2
	v_add_co_u32 v45, s2, v27, v45
	v_add_co_ci_u32_e64 v46, null, v28, v46, s2
	global_load_dwordx4 v[9:12], v[9:10], off
	v_add_co_u32 v29, s2, v27, v29
	global_load_dwordx4 v[45:48], v[45:46], off
	v_add_co_ci_u32_e64 v30, null, v28, v30, s2
	global_load_dwordx4 v[49:52], v[29:30], off
	v_ashrrev_i32_e32 v30, 31, v31
	v_mov_b32_e32 v29, v31
	v_lshlrev_b64 v[29:30], 4, v[29:30]
	v_add_co_u32 v29, s2, v27, v29
	v_add_co_ci_u32_e64 v30, null, v28, v30, s2
	global_load_dwordx4 v[53:56], v[29:30], off
	v_ashrrev_i32_e32 v30, 31, v32
	v_mov_b32_e32 v29, v32
	v_lshlrev_b64 v[57:58], 4, v[29:30]
	ds_read_b128 v[29:32], v24
	v_add_co_u32 v57, s2, v27, v57
	v_add_co_ci_u32_e64 v58, null, v28, v58, s2
	global_load_dwordx4 v[57:60], v[57:58], off
	s_waitcnt vmcnt(7) lgkmcnt(0)
	v_fma_f64 v[17:18], v[29:30], v[33:34], v[17:18]
	v_fma_f64 v[19:20], v[31:32], v[33:34], v[19:20]
	v_xor_b32_e32 v33, 0x80000000, v36
	v_cndmask_b32_e64 v36, v36, v33, s0
	v_fma_f64 v[17:18], -v[31:32], v[35:36], v[17:18]
	v_fma_f64 v[19:20], v[29:30], v[35:36], v[19:20]
	s_waitcnt vmcnt(6)
	v_xor_b32_e32 v29, 0x80000000, v40
	v_cndmask_b32_e64 v40, v40, v29, s0
	v_fma_f64 v[17:18], v[61:62], v[37:38], v[17:18]
	v_fma_f64 v[19:20], v[63:64], v[37:38], v[19:20]
	s_waitcnt vmcnt(5)
	v_xor_b32_e32 v37, 0x80000000, v44
	v_cndmask_b32_e64 v44, v44, v37, s0
	v_fma_f64 v[33:34], -v[63:64], v[39:40], v[17:18]
	v_fma_f64 v[35:36], v[61:62], v[39:40], v[19:20]
	ds_read_b128 v[17:20], v24 offset:32
	ds_read_b128 v[29:32], v24 offset:48
	s_waitcnt lgkmcnt(1)
	v_fma_f64 v[33:34], v[17:18], v[41:42], v[33:34]
	v_fma_f64 v[35:36], v[19:20], v[41:42], v[35:36]
	v_fma_f64 v[19:20], -v[19:20], v[43:44], v[33:34]
	v_fma_f64 v[17:18], v[17:18], v[43:44], v[35:36]
	s_waitcnt vmcnt(3)
	v_xor_b32_e32 v33, 0x80000000, v48
	v_cndmask_b32_e64 v48, v48, v33, s0
	s_waitcnt vmcnt(1)
	v_xor_b32_e32 v33, 0x80000000, v56
	v_cndmask_b32_e64 v56, v56, v33, s0
	s_waitcnt lgkmcnt(0)
	v_fma_f64 v[19:20], v[29:30], v[9:10], v[19:20]
	v_fma_f64 v[9:10], v[31:32], v[9:10], v[17:18]
	v_xor_b32_e32 v17, 0x80000000, v12
	v_cndmask_b32_e64 v12, v12, v17, s0
	v_fma_f64 v[31:32], -v[31:32], v[11:12], v[19:20]
	v_fma_f64 v[29:30], v[29:30], v[11:12], v[9:10]
	ds_read_b128 v[9:12], v24 offset:64
	ds_read_b128 v[17:20], v24 offset:80
	s_waitcnt lgkmcnt(1)
	v_fma_f64 v[31:32], v[9:10], v[45:46], v[31:32]
	v_fma_f64 v[29:30], v[11:12], v[45:46], v[29:30]
	v_fma_f64 v[11:12], -v[11:12], v[47:48], v[31:32]
	v_fma_f64 v[9:10], v[9:10], v[47:48], v[29:30]
	v_xor_b32_e32 v29, 0x80000000, v52
	v_cndmask_b32_e64 v52, v52, v29, s0
	s_waitcnt lgkmcnt(0)
	v_fma_f64 v[11:12], v[17:18], v[49:50], v[11:12]
	v_fma_f64 v[9:10], v[19:20], v[49:50], v[9:10]
	v_fma_f64 v[19:20], -v[19:20], v[51:52], v[11:12]
	v_fma_f64 v[17:18], v[17:18], v[51:52], v[9:10]
	ds_read_b128 v[9:12], v24 offset:96
	ds_read_b128 v[29:32], v24 offset:112
	s_waitcnt lgkmcnt(1)
	v_fma_f64 v[19:20], v[9:10], v[53:54], v[19:20]
	v_fma_f64 v[17:18], v[11:12], v[53:54], v[17:18]
	v_fma_f64 v[11:12], -v[11:12], v[55:56], v[19:20]
	v_fma_f64 v[9:10], v[9:10], v[55:56], v[17:18]
	s_waitcnt vmcnt(0)
	v_xor_b32_e32 v17, 0x80000000, v60
	v_cndmask_b32_e64 v60, v60, v17, s0
	s_waitcnt lgkmcnt(0)
	v_fma_f64 v[11:12], v[29:30], v[57:58], v[11:12]
	v_fma_f64 v[9:10], v[31:32], v[57:58], v[9:10]
	v_fma_f64 v[17:18], -v[31:32], v[59:60], v[11:12]
	v_fma_f64 v[19:20], v[29:30], v[59:60], v[9:10]
	s_branch .LBB9_6
.LBB9_11:
	s_or_b32 exec_lo, exec_lo, s9
.LBB9_12:
	s_or_b32 exec_lo, exec_lo, s6
	v_cmp_gt_i32_e32 vcc_lo, s30, v15
	s_and_b32 exec_lo, exec_lo, vcc_lo
	s_cbranch_execz .LBB9_23
; %bb.13:
	v_mul_f64 v[9:10], v[19:20], -v[7:8]
	v_mul_f64 v[11:12], v[5:6], v[19:20]
	v_cmp_neq_f64_e32 vcc_lo, 0, v[1:2]
	v_cmp_neq_f64_e64 s0, 0, v[3:4]
	s_clause 0x1
	s_load_dwordx2 s[12:13], s[4:5], 0x80
	s_load_dwordx4 s[4:7], s[4:5], 0x70
	v_fma_f64 v[5:6], v[5:6], v[17:18], v[9:10]
	v_fma_f64 v[7:8], v[7:8], v[17:18], v[11:12]
	s_waitcnt lgkmcnt(0)
	s_mul_i32 s9, s12, s3
	s_or_b32 s1, vcc_lo, s0
	s_cmp_lg_u32 s10, 1
	s_mul_hi_u32 s10, s12, s8
	s_cselect_b32 s2, -1, 0
	s_mul_i32 s3, s13, s8
	s_mul_i32 s0, s12, s8
	s_and_saveexec_b32 s8, s1
	s_xor_b32 s8, exec_lo, s8
	s_cbranch_execz .LBB9_18
; %bb.14:
	s_add_i32 s1, s10, s9
	s_and_b32 vcc_lo, exec_lo, s2
	s_add_i32 s1, s1, s3
	s_mov_b32 s11, -1
	s_cbranch_vccz .LBB9_16
; %bb.15:
	v_mad_u64_u32 v[9:10], null, s6, v13, 0
	s_lshl_b64 s[12:13], s[0:1], 4
	s_mov_b32 s11, 0
	v_mov_b32_e32 v0, v10
	v_mad_u64_u32 v[10:11], null, s7, v13, v[0:1]
	v_lshlrev_b64 v[11:12], 4, v[15:16]
	v_lshlrev_b64 v[9:10], 4, v[9:10]
	v_add_co_u32 v0, vcc_lo, s4, v9
	v_add_co_ci_u32_e64 v9, null, s5, v10, vcc_lo
	v_add_co_u32 v0, vcc_lo, v0, v11
	v_add_co_ci_u32_e64 v9, null, v9, v12, vcc_lo
	;; [unrolled: 2-line block ×3, first 2 shown]
	global_load_dwordx4 v[9:12], v[17:18], off
	s_waitcnt vmcnt(0)
	v_fma_f64 v[19:20], v[1:2], v[9:10], v[5:6]
	v_fma_f64 v[21:22], v[3:4], v[9:10], v[7:8]
	v_fma_f64 v[9:10], -v[3:4], v[11:12], v[19:20]
	v_fma_f64 v[11:12], v[1:2], v[11:12], v[21:22]
	global_store_dwordx4 v[17:18], v[9:12], off
.LBB9_16:
	s_andn2_b32 vcc_lo, exec_lo, s11
	s_cbranch_vccnz .LBB9_18
; %bb.17:
	v_mul_lo_u32 v0, s7, v15
	v_mul_lo_u32 v11, s6, v16
	v_mad_u64_u32 v[9:10], null, s6, v15, 0
	s_lshl_b64 s[12:13], s[0:1], 4
                                        ; implicit-def: $vgpr15_vgpr16
	v_add3_u32 v10, v10, v11, v0
	v_lshlrev_b64 v[11:12], 4, v[13:14]
	v_lshlrev_b64 v[9:10], 4, v[9:10]
	v_add_co_u32 v0, vcc_lo, s4, v9
	v_add_co_ci_u32_e64 v9, null, s5, v10, vcc_lo
	v_add_co_u32 v0, vcc_lo, v0, v11
	v_add_co_ci_u32_e64 v9, null, v9, v12, vcc_lo
	;; [unrolled: 2-line block ×3, first 2 shown]
	global_load_dwordx4 v[9:12], v[13:14], off
	s_waitcnt vmcnt(0)
	v_fma_f64 v[5:6], v[1:2], v[9:10], v[5:6]
	v_fma_f64 v[7:8], v[3:4], v[9:10], v[7:8]
	v_fma_f64 v[3:4], -v[3:4], v[11:12], v[5:6]
	v_fma_f64 v[5:6], v[1:2], v[11:12], v[7:8]
	global_store_dwordx4 v[13:14], v[3:6], off
                                        ; implicit-def: $vgpr13_vgpr14
                                        ; implicit-def: $vgpr5_vgpr6
.LBB9_18:
	s_andn2_saveexec_b32 s1, s8
	s_cbranch_execz .LBB9_23
; %bb.19:
	s_add_i32 s1, s10, s9
	s_and_b32 vcc_lo, exec_lo, s2
	s_add_i32 s1, s1, s3
	s_mov_b32 s2, -1
	s_cbranch_vccz .LBB9_21
; %bb.20:
	v_mad_u64_u32 v[0:1], null, s6, v13, 0
	s_lshl_b64 s[2:3], s[0:1], 4
	v_mad_u64_u32 v[1:2], null, s7, v13, v[1:2]
	v_lshlrev_b64 v[2:3], 4, v[15:16]
	v_lshlrev_b64 v[0:1], 4, v[0:1]
	v_add_co_u32 v0, vcc_lo, s4, v0
	v_add_co_ci_u32_e64 v1, null, s5, v1, vcc_lo
	v_add_co_u32 v0, vcc_lo, v0, v2
	v_add_co_ci_u32_e64 v1, null, v1, v3, vcc_lo
	;; [unrolled: 2-line block ×3, first 2 shown]
	s_mov_b32 s2, 0
	global_store_dwordx4 v[0:1], v[5:8], off
.LBB9_21:
	s_andn2_b32 vcc_lo, exec_lo, s2
	s_cbranch_vccnz .LBB9_23
; %bb.22:
	v_mul_lo_u32 v2, s7, v15
	v_mul_lo_u32 v3, s6, v16
	v_mad_u64_u32 v[0:1], null, s6, v15, 0
	s_lshl_b64 s[0:1], s[0:1], 4
	v_add3_u32 v1, v1, v3, v2
	v_lshlrev_b64 v[2:3], 4, v[13:14]
	v_lshlrev_b64 v[0:1], 4, v[0:1]
	v_add_co_u32 v0, vcc_lo, s4, v0
	v_add_co_ci_u32_e64 v1, null, s5, v1, vcc_lo
	v_add_co_u32 v0, vcc_lo, v0, v2
	v_add_co_ci_u32_e64 v1, null, v1, v3, vcc_lo
	;; [unrolled: 2-line block ×3, first 2 shown]
	global_store_dwordx4 v[0:1], v[5:8], off
.LBB9_23:
	s_endpgm
	.section	.rodata,"a",@progbits
	.p2align	6, 0x0
	.amdhsa_kernel _ZN9rocsparse31csrmmnn_row_split_shared_kernelILj256ELj8E21rocsparse_complex_numIdEiiS2_S2_S2_EEvNS_24const_host_device_scalarIT1_EES5_bbbT3_S6_llPKT2_PKS6_PKT4_PKT5_llPT6_ll16rocsparse_order_21rocsparse_index_base_
		.amdhsa_group_segment_fixed_size 5120
		.amdhsa_private_segment_fixed_size 0
		.amdhsa_kernarg_size 144
		.amdhsa_user_sgpr_count 6
		.amdhsa_user_sgpr_private_segment_buffer 1
		.amdhsa_user_sgpr_dispatch_ptr 0
		.amdhsa_user_sgpr_queue_ptr 0
		.amdhsa_user_sgpr_kernarg_segment_ptr 1
		.amdhsa_user_sgpr_dispatch_id 0
		.amdhsa_user_sgpr_flat_scratch_init 0
		.amdhsa_user_sgpr_private_segment_size 0
		.amdhsa_wavefront_size32 1
		.amdhsa_uses_dynamic_stack 0
		.amdhsa_system_sgpr_private_segment_wavefront_offset 0
		.amdhsa_system_sgpr_workgroup_id_x 1
		.amdhsa_system_sgpr_workgroup_id_y 1
		.amdhsa_system_sgpr_workgroup_id_z 1
		.amdhsa_system_sgpr_workgroup_info 0
		.amdhsa_system_vgpr_workitem_id 0
		.amdhsa_next_free_vgpr 65
		.amdhsa_next_free_sgpr 32
		.amdhsa_reserve_vcc 1
		.amdhsa_reserve_flat_scratch 0
		.amdhsa_float_round_mode_32 0
		.amdhsa_float_round_mode_16_64 0
		.amdhsa_float_denorm_mode_32 3
		.amdhsa_float_denorm_mode_16_64 3
		.amdhsa_dx10_clamp 1
		.amdhsa_ieee_mode 1
		.amdhsa_fp16_overflow 0
		.amdhsa_workgroup_processor_mode 1
		.amdhsa_memory_ordered 1
		.amdhsa_forward_progress 1
		.amdhsa_shared_vgpr_count 0
		.amdhsa_exception_fp_ieee_invalid_op 0
		.amdhsa_exception_fp_denorm_src 0
		.amdhsa_exception_fp_ieee_div_zero 0
		.amdhsa_exception_fp_ieee_overflow 0
		.amdhsa_exception_fp_ieee_underflow 0
		.amdhsa_exception_fp_ieee_inexact 0
		.amdhsa_exception_int_div_zero 0
	.end_amdhsa_kernel
	.section	.text._ZN9rocsparse31csrmmnn_row_split_shared_kernelILj256ELj8E21rocsparse_complex_numIdEiiS2_S2_S2_EEvNS_24const_host_device_scalarIT1_EES5_bbbT3_S6_llPKT2_PKS6_PKT4_PKT5_llPT6_ll16rocsparse_order_21rocsparse_index_base_,"axG",@progbits,_ZN9rocsparse31csrmmnn_row_split_shared_kernelILj256ELj8E21rocsparse_complex_numIdEiiS2_S2_S2_EEvNS_24const_host_device_scalarIT1_EES5_bbbT3_S6_llPKT2_PKS6_PKT4_PKT5_llPT6_ll16rocsparse_order_21rocsparse_index_base_,comdat
.Lfunc_end9:
	.size	_ZN9rocsparse31csrmmnn_row_split_shared_kernelILj256ELj8E21rocsparse_complex_numIdEiiS2_S2_S2_EEvNS_24const_host_device_scalarIT1_EES5_bbbT3_S6_llPKT2_PKS6_PKT4_PKT5_llPT6_ll16rocsparse_order_21rocsparse_index_base_, .Lfunc_end9-_ZN9rocsparse31csrmmnn_row_split_shared_kernelILj256ELj8E21rocsparse_complex_numIdEiiS2_S2_S2_EEvNS_24const_host_device_scalarIT1_EES5_bbbT3_S6_llPKT2_PKS6_PKT4_PKT5_llPT6_ll16rocsparse_order_21rocsparse_index_base_
                                        ; -- End function
	.set _ZN9rocsparse31csrmmnn_row_split_shared_kernelILj256ELj8E21rocsparse_complex_numIdEiiS2_S2_S2_EEvNS_24const_host_device_scalarIT1_EES5_bbbT3_S6_llPKT2_PKS6_PKT4_PKT5_llPT6_ll16rocsparse_order_21rocsparse_index_base_.num_vgpr, 65
	.set _ZN9rocsparse31csrmmnn_row_split_shared_kernelILj256ELj8E21rocsparse_complex_numIdEiiS2_S2_S2_EEvNS_24const_host_device_scalarIT1_EES5_bbbT3_S6_llPKT2_PKS6_PKT4_PKT5_llPT6_ll16rocsparse_order_21rocsparse_index_base_.num_agpr, 0
	.set _ZN9rocsparse31csrmmnn_row_split_shared_kernelILj256ELj8E21rocsparse_complex_numIdEiiS2_S2_S2_EEvNS_24const_host_device_scalarIT1_EES5_bbbT3_S6_llPKT2_PKS6_PKT4_PKT5_llPT6_ll16rocsparse_order_21rocsparse_index_base_.numbered_sgpr, 32
	.set _ZN9rocsparse31csrmmnn_row_split_shared_kernelILj256ELj8E21rocsparse_complex_numIdEiiS2_S2_S2_EEvNS_24const_host_device_scalarIT1_EES5_bbbT3_S6_llPKT2_PKS6_PKT4_PKT5_llPT6_ll16rocsparse_order_21rocsparse_index_base_.num_named_barrier, 0
	.set _ZN9rocsparse31csrmmnn_row_split_shared_kernelILj256ELj8E21rocsparse_complex_numIdEiiS2_S2_S2_EEvNS_24const_host_device_scalarIT1_EES5_bbbT3_S6_llPKT2_PKS6_PKT4_PKT5_llPT6_ll16rocsparse_order_21rocsparse_index_base_.private_seg_size, 0
	.set _ZN9rocsparse31csrmmnn_row_split_shared_kernelILj256ELj8E21rocsparse_complex_numIdEiiS2_S2_S2_EEvNS_24const_host_device_scalarIT1_EES5_bbbT3_S6_llPKT2_PKS6_PKT4_PKT5_llPT6_ll16rocsparse_order_21rocsparse_index_base_.uses_vcc, 1
	.set _ZN9rocsparse31csrmmnn_row_split_shared_kernelILj256ELj8E21rocsparse_complex_numIdEiiS2_S2_S2_EEvNS_24const_host_device_scalarIT1_EES5_bbbT3_S6_llPKT2_PKS6_PKT4_PKT5_llPT6_ll16rocsparse_order_21rocsparse_index_base_.uses_flat_scratch, 0
	.set _ZN9rocsparse31csrmmnn_row_split_shared_kernelILj256ELj8E21rocsparse_complex_numIdEiiS2_S2_S2_EEvNS_24const_host_device_scalarIT1_EES5_bbbT3_S6_llPKT2_PKS6_PKT4_PKT5_llPT6_ll16rocsparse_order_21rocsparse_index_base_.has_dyn_sized_stack, 0
	.set _ZN9rocsparse31csrmmnn_row_split_shared_kernelILj256ELj8E21rocsparse_complex_numIdEiiS2_S2_S2_EEvNS_24const_host_device_scalarIT1_EES5_bbbT3_S6_llPKT2_PKS6_PKT4_PKT5_llPT6_ll16rocsparse_order_21rocsparse_index_base_.has_recursion, 0
	.set _ZN9rocsparse31csrmmnn_row_split_shared_kernelILj256ELj8E21rocsparse_complex_numIdEiiS2_S2_S2_EEvNS_24const_host_device_scalarIT1_EES5_bbbT3_S6_llPKT2_PKS6_PKT4_PKT5_llPT6_ll16rocsparse_order_21rocsparse_index_base_.has_indirect_call, 0
	.section	.AMDGPU.csdata,"",@progbits
; Kernel info:
; codeLenInByte = 2316
; TotalNumSgprs: 34
; NumVgprs: 65
; ScratchSize: 0
; MemoryBound: 0
; FloatMode: 240
; IeeeMode: 1
; LDSByteSize: 5120 bytes/workgroup (compile time only)
; SGPRBlocks: 0
; VGPRBlocks: 8
; NumSGPRsForWavesPerEU: 34
; NumVGPRsForWavesPerEU: 65
; Occupancy: 12
; WaveLimiterHint : 1
; COMPUTE_PGM_RSRC2:SCRATCH_EN: 0
; COMPUTE_PGM_RSRC2:USER_SGPR: 6
; COMPUTE_PGM_RSRC2:TRAP_HANDLER: 0
; COMPUTE_PGM_RSRC2:TGID_X_EN: 1
; COMPUTE_PGM_RSRC2:TGID_Y_EN: 1
; COMPUTE_PGM_RSRC2:TGID_Z_EN: 1
; COMPUTE_PGM_RSRC2:TIDIG_COMP_CNT: 0
	.section	.text._ZN9rocsparse31csrmmnn_row_split_shared_kernelILj256ELj8E21rocsparse_complex_numIdEliS2_S2_S2_EEvNS_24const_host_device_scalarIT1_EES5_bbbT3_S6_llPKT2_PKS6_PKT4_PKT5_llPT6_ll16rocsparse_order_21rocsparse_index_base_,"axG",@progbits,_ZN9rocsparse31csrmmnn_row_split_shared_kernelILj256ELj8E21rocsparse_complex_numIdEliS2_S2_S2_EEvNS_24const_host_device_scalarIT1_EES5_bbbT3_S6_llPKT2_PKS6_PKT4_PKT5_llPT6_ll16rocsparse_order_21rocsparse_index_base_,comdat
	.protected	_ZN9rocsparse31csrmmnn_row_split_shared_kernelILj256ELj8E21rocsparse_complex_numIdEliS2_S2_S2_EEvNS_24const_host_device_scalarIT1_EES5_bbbT3_S6_llPKT2_PKS6_PKT4_PKT5_llPT6_ll16rocsparse_order_21rocsparse_index_base_ ; -- Begin function _ZN9rocsparse31csrmmnn_row_split_shared_kernelILj256ELj8E21rocsparse_complex_numIdEliS2_S2_S2_EEvNS_24const_host_device_scalarIT1_EES5_bbbT3_S6_llPKT2_PKS6_PKT4_PKT5_llPT6_ll16rocsparse_order_21rocsparse_index_base_
	.globl	_ZN9rocsparse31csrmmnn_row_split_shared_kernelILj256ELj8E21rocsparse_complex_numIdEliS2_S2_S2_EEvNS_24const_host_device_scalarIT1_EES5_bbbT3_S6_llPKT2_PKS6_PKT4_PKT5_llPT6_ll16rocsparse_order_21rocsparse_index_base_
	.p2align	8
	.type	_ZN9rocsparse31csrmmnn_row_split_shared_kernelILj256ELj8E21rocsparse_complex_numIdEliS2_S2_S2_EEvNS_24const_host_device_scalarIT1_EES5_bbbT3_S6_llPKT2_PKS6_PKT4_PKT5_llPT6_ll16rocsparse_order_21rocsparse_index_base_,@function
_ZN9rocsparse31csrmmnn_row_split_shared_kernelILj256ELj8E21rocsparse_complex_numIdEliS2_S2_S2_EEvNS_24const_host_device_scalarIT1_EES5_bbbT3_S6_llPKT2_PKS6_PKT4_PKT5_llPT6_ll16rocsparse_order_21rocsparse_index_base_: ; @_ZN9rocsparse31csrmmnn_row_split_shared_kernelILj256ELj8E21rocsparse_complex_numIdEliS2_S2_S2_EEvNS_24const_host_device_scalarIT1_EES5_bbbT3_S6_llPKT2_PKS6_PKT4_PKT5_llPT6_ll16rocsparse_order_21rocsparse_index_base_
; %bb.0:
	s_clause 0x1
	s_load_dword s1, s[4:5], 0x20
	s_load_dwordx2 s[2:3], s[4:5], 0x0
	s_add_u32 s0, s4, 16
	s_addc_u32 s9, s5, 0
	s_load_dwordx2 s[10:11], s[4:5], 0x10
	s_waitcnt lgkmcnt(0)
	s_bitcmp1_b32 s1, 0
	s_cselect_b32 s2, s4, s2
	s_cselect_b32 s3, s5, s3
	v_mov_b32_e32 v1, s2
	v_mov_b32_e32 v2, s3
	s_cselect_b32 s0, s0, s10
	s_cselect_b32 s2, s9, s11
	flat_load_dwordx4 v[5:8], v[1:2]
	v_mov_b32_e32 v1, s0
	v_mov_b32_e32 v2, s2
	flat_load_dwordx4 v[1:4], v[1:2]
	s_waitcnt vmcnt(1) lgkmcnt(1)
	v_cmp_eq_f64_e32 vcc_lo, 0, v[5:6]
	v_cmp_eq_f64_e64 s0, 0, v[7:8]
	s_and_b32 s3, vcc_lo, s0
	s_mov_b32 s0, -1
	s_and_saveexec_b32 s2, s3
	s_cbranch_execz .LBB10_2
; %bb.1:
	s_waitcnt vmcnt(0) lgkmcnt(0)
	v_cmp_neq_f64_e32 vcc_lo, 1.0, v[1:2]
	v_cmp_neq_f64_e64 s0, 0, v[3:4]
	s_or_b32 s0, vcc_lo, s0
	s_orn2_b32 s0, s0, exec_lo
.LBB10_2:
	s_or_b32 exec_lo, exec_lo, s2
	s_and_saveexec_b32 s2, s0
	s_cbranch_execz .LBB10_23
; %bb.3:
	s_load_dwordx4 s[28:31], s[4:5], 0x20
	v_lshl_or_b32 v9, s6, 8, v0
	v_lshrrev_b32_e32 v13, 3, v9
	s_waitcnt lgkmcnt(0)
	v_cmp_gt_i32_e32 vcc_lo, s29, v13
	s_and_b32 exec_lo, exec_lo, vcc_lo
	s_cbranch_execz .LBB10_23
; %bb.4:
	s_load_dwordx16 s[12:27], s[4:5], 0x30
	s_ashr_i32 s9, s8, 31
	v_lshlrev_b32_e32 v9, 3, v13
	s_load_dwordx2 s[10:11], s[4:5], 0x88
	v_and_b32_e32 v29, 7, v0
	v_mov_b32_e32 v25, 0
	v_mov_b32_e32 v27, 0
	;; [unrolled: 1-line block ×4, first 2 shown]
	v_lshl_or_b32 v15, s7, 3, v29
	v_mov_b32_e32 v14, 0
	s_mov_b32 s6, exec_lo
	v_ashrrev_i32_e32 v16, 31, v15
	s_waitcnt lgkmcnt(0)
	s_mul_hi_u32 s0, s12, s8
	s_mul_i32 s2, s12, s9
	s_mul_i32 s3, s13, s8
	s_add_i32 s0, s0, s2
	s_mul_i32 s2, s12, s8
	s_add_i32 s3, s0, s3
	s_lshl_b64 s[2:3], s[2:3], 3
	s_add_u32 s2, s16, s2
	s_addc_u32 s3, s17, s3
	global_load_dwordx4 v[9:12], v9, s[2:3]
	s_waitcnt vmcnt(0)
	v_cmpx_lt_i64_e64 v[9:10], v[11:12]
	s_cbranch_execz .LBB10_12
; %bb.5:
	v_lshrrev_b32_e32 v19, 3, v0
	s_bitcmp1_b32 s1, 8
	v_sub_co_u32 v17, vcc_lo, v11, s11
	v_subrev_co_ci_u32_e64 v18, null, 0, v12, vcc_lo
	v_lshl_or_b32 v0, v19, 5, 0x1000
	v_lshlrev_b32_e32 v30, 7, v19
	v_sub_co_u32 v19, s1, v9, s11
	v_subrev_co_ci_u32_e64 v20, null, 0, v10, s1
	v_mad_u64_u32 v[9:10], null, s14, s8, v[9:10]
	v_mul_lo_u32 v21, s25, v15
	v_mul_lo_u32 v22, s24, v16
	v_mad_u64_u32 v[11:12], null, s24, v15, 0
	s_mul_i32 s7, s15, s8
	s_mul_i32 s12, s14, s9
	s_cselect_b32 vcc_lo, -1, 0
	s_bitcmp1_b32 s28, 16
	s_mul_i32 s2, s26, s9
	s_mul_hi_u32 s3, s26, s8
	v_add3_u32 v10, s12, s7, v10
	s_cselect_b32 s0, -1, 0
	s_add_i32 s2, s3, s2
	s_mul_i32 s3, s27, s8
	v_add3_u32 v12, v12, v22, v21
	s_add_i32 s13, s2, s3
	v_add_co_u32 v21, s2, v9, v29
	v_add_co_ci_u32_e64 v22, null, 0, v10, s2
	v_lshlrev_b64 v[9:10], 4, v[11:12]
	v_sub_co_u32 v11, s2, v21, s11
	v_subrev_co_ci_u32_e64 v12, null, 0, v22, s2
	s_mul_i32 s12, s26, s8
	v_add_co_u32 v21, s2, s22, v9
	v_add_co_ci_u32_e64 v22, null, s23, v10, s2
	v_lshlrev_b64 v[9:10], 2, v[11:12]
	s_lshl_b64 s[2:3], s[12:13], 4
	v_lshlrev_b64 v[11:12], 4, v[11:12]
	v_add_co_u32 v33, s2, v21, s2
	v_add_co_ci_u32_e64 v34, null, s3, v22, s2
	v_add_co_u32 v21, s2, s18, v9
	v_add_co_ci_u32_e64 v22, null, s19, v10, s2
	;; [unrolled: 2-line block ×3, first 2 shown]
	v_mov_b32_e32 v25, 0
	v_add_co_u32 v23, s2, v9, 8
	v_mov_b32_e32 v27, 0
	v_lshl_or_b32 v31, v29, 2, v0
	v_lshl_or_b32 v32, v29, 4, v30
	v_cmp_gt_i32_e64 s1, s30, v15
	v_mov_b32_e32 v26, 0
	v_mov_b32_e32 v28, 0
	v_add_co_ci_u32_e64 v24, null, 0, v10, s2
	s_mov_b32 s7, 0
	s_branch .LBB10_7
.LBB10_6:                               ;   in Loop: Header=BB10_7 Depth=1
	s_or_b32 exec_lo, exec_lo, s3
	v_add_co_u32 v19, s2, v19, 8
	v_add_co_ci_u32_e64 v20, null, 0, v20, s2
	v_add_co_u32 v21, s2, v21, 32
	v_add_co_ci_u32_e64 v22, null, 0, v22, s2
	v_cmp_ge_i64_e64 s2, v[19:20], v[17:18]
	v_add_co_u32 v23, s3, 0x80, v23
	v_add_co_ci_u32_e64 v24, null, 0, v24, s3
	s_or_b32 s7, s2, s7
	s_andn2_b32 exec_lo, exec_lo, s7
	s_cbranch_execz .LBB10_11
.LBB10_7:                               ; =>This Inner Loop Header: Depth=1
	v_add_co_u32 v11, s2, v29, v19
	v_add_co_ci_u32_e64 v12, null, 0, v20, s2
	v_mov_b32_e32 v9, 0
	v_mov_b32_e32 v10, 0
	;; [unrolled: 1-line block ×3, first 2 shown]
	v_cmp_lt_i64_e64 s2, v[11:12], v[17:18]
	v_mov_b32_e32 v11, 0
	v_mov_b32_e32 v12, 0
	s_barrier
	buffer_gl0_inv
	s_and_saveexec_b32 s3, s2
	s_cbranch_execz .LBB10_9
; %bb.8:                                ;   in Loop: Header=BB10_7 Depth=1
	global_load_dwordx4 v[9:12], v[23:24], off offset:-8
	global_load_dword v35, v[21:22], off
	s_waitcnt vmcnt(1)
	v_xor_b32_e32 v36, 0x80000000, v12
	s_waitcnt vmcnt(0)
	v_subrev_nc_u32_e32 v35, s11, v35
	v_cndmask_b32_e32 v12, v12, v36, vcc_lo
.LBB10_9:                               ;   in Loop: Header=BB10_7 Depth=1
	s_or_b32 exec_lo, exec_lo, s3
	ds_write_b32 v31, v35
	ds_write_b128 v32, v[9:12]
	s_waitcnt lgkmcnt(0)
	s_barrier
	buffer_gl0_inv
	s_and_saveexec_b32 s3, s1
	s_cbranch_execz .LBB10_6
; %bb.10:                               ;   in Loop: Header=BB10_7 Depth=1
	ds_read_b128 v[9:12], v0
	ds_read_b128 v[35:38], v0 offset:16
	ds_read_b128 v[67:70], v30 offset:16
	s_waitcnt lgkmcnt(2)
	v_ashrrev_i32_e32 v40, 31, v9
	v_mov_b32_e32 v39, v9
	v_ashrrev_i32_e32 v44, 31, v10
	v_mov_b32_e32 v43, v10
	s_waitcnt lgkmcnt(1)
	v_ashrrev_i32_e32 v52, 31, v35
	v_mov_b32_e32 v51, v35
	v_lshlrev_b64 v[39:40], 4, v[39:40]
	v_ashrrev_i32_e32 v56, 31, v36
	v_lshlrev_b64 v[9:10], 4, v[43:44]
	v_mov_b32_e32 v55, v36
	v_lshlrev_b64 v[51:52], 4, v[51:52]
	v_add_co_u32 v39, s2, v33, v39
	v_add_co_ci_u32_e64 v40, null, v34, v40, s2
	v_add_co_u32 v9, s2, v33, v9
	v_add_co_ci_u32_e64 v10, null, v34, v10, s2
	global_load_dwordx4 v[39:42], v[39:40], off
	v_lshlrev_b64 v[35:36], 4, v[55:56]
	global_load_dwordx4 v[43:46], v[9:10], off
	v_ashrrev_i32_e32 v10, 31, v11
	v_mov_b32_e32 v9, v11
	v_lshlrev_b64 v[9:10], 4, v[9:10]
	v_add_co_u32 v9, s2, v33, v9
	v_add_co_ci_u32_e64 v10, null, v34, v10, s2
	global_load_dwordx4 v[47:50], v[9:10], off
	v_ashrrev_i32_e32 v10, 31, v12
	v_mov_b32_e32 v9, v12
	v_lshlrev_b64 v[9:10], 4, v[9:10]
	v_add_co_u32 v9, s2, v33, v9
	v_add_co_ci_u32_e64 v10, null, v34, v10, s2
	v_add_co_u32 v51, s2, v33, v51
	v_add_co_ci_u32_e64 v52, null, v34, v52, s2
	global_load_dwordx4 v[9:12], v[9:10], off
	v_add_co_u32 v35, s2, v33, v35
	global_load_dwordx4 v[51:54], v[51:52], off
	v_add_co_ci_u32_e64 v36, null, v34, v36, s2
	global_load_dwordx4 v[55:58], v[35:36], off
	v_ashrrev_i32_e32 v36, 31, v37
	v_mov_b32_e32 v35, v37
	v_lshlrev_b64 v[35:36], 4, v[35:36]
	v_add_co_u32 v35, s2, v33, v35
	v_add_co_ci_u32_e64 v36, null, v34, v36, s2
	global_load_dwordx4 v[59:62], v[35:36], off
	v_ashrrev_i32_e32 v36, 31, v38
	v_mov_b32_e32 v35, v38
	v_lshlrev_b64 v[63:64], 4, v[35:36]
	ds_read_b128 v[35:38], v30
	v_add_co_u32 v63, s2, v33, v63
	v_add_co_ci_u32_e64 v64, null, v34, v64, s2
	global_load_dwordx4 v[63:66], v[63:64], off
	s_waitcnt vmcnt(7) lgkmcnt(0)
	v_fma_f64 v[27:28], v[35:36], v[39:40], v[27:28]
	v_fma_f64 v[25:26], v[37:38], v[39:40], v[25:26]
	v_xor_b32_e32 v39, 0x80000000, v42
	v_cndmask_b32_e64 v42, v42, v39, s0
	v_fma_f64 v[27:28], -v[37:38], v[41:42], v[27:28]
	v_fma_f64 v[25:26], v[35:36], v[41:42], v[25:26]
	s_waitcnt vmcnt(6)
	v_xor_b32_e32 v35, 0x80000000, v46
	v_cndmask_b32_e64 v46, v46, v35, s0
	v_fma_f64 v[27:28], v[67:68], v[43:44], v[27:28]
	v_fma_f64 v[25:26], v[69:70], v[43:44], v[25:26]
	s_waitcnt vmcnt(5)
	v_xor_b32_e32 v43, 0x80000000, v50
	v_cndmask_b32_e64 v50, v50, v43, s0
	v_fma_f64 v[39:40], -v[69:70], v[45:46], v[27:28]
	v_fma_f64 v[41:42], v[67:68], v[45:46], v[25:26]
	ds_read_b128 v[25:28], v30 offset:32
	ds_read_b128 v[35:38], v30 offset:48
	s_waitcnt lgkmcnt(1)
	v_fma_f64 v[39:40], v[25:26], v[47:48], v[39:40]
	v_fma_f64 v[41:42], v[27:28], v[47:48], v[41:42]
	v_fma_f64 v[27:28], -v[27:28], v[49:50], v[39:40]
	v_fma_f64 v[25:26], v[25:26], v[49:50], v[41:42]
	s_waitcnt vmcnt(3)
	v_xor_b32_e32 v39, 0x80000000, v54
	v_cndmask_b32_e64 v54, v54, v39, s0
	s_waitcnt vmcnt(1)
	v_xor_b32_e32 v39, 0x80000000, v62
	v_cndmask_b32_e64 v62, v62, v39, s0
	s_waitcnt lgkmcnt(0)
	v_fma_f64 v[27:28], v[35:36], v[9:10], v[27:28]
	v_fma_f64 v[9:10], v[37:38], v[9:10], v[25:26]
	v_xor_b32_e32 v25, 0x80000000, v12
	v_cndmask_b32_e64 v12, v12, v25, s0
	v_fma_f64 v[37:38], -v[37:38], v[11:12], v[27:28]
	v_fma_f64 v[35:36], v[35:36], v[11:12], v[9:10]
	ds_read_b128 v[9:12], v30 offset:64
	ds_read_b128 v[25:28], v30 offset:80
	s_waitcnt lgkmcnt(1)
	v_fma_f64 v[37:38], v[9:10], v[51:52], v[37:38]
	v_fma_f64 v[35:36], v[11:12], v[51:52], v[35:36]
	v_fma_f64 v[11:12], -v[11:12], v[53:54], v[37:38]
	v_fma_f64 v[9:10], v[9:10], v[53:54], v[35:36]
	v_xor_b32_e32 v35, 0x80000000, v58
	v_cndmask_b32_e64 v58, v58, v35, s0
	s_waitcnt lgkmcnt(0)
	v_fma_f64 v[11:12], v[25:26], v[55:56], v[11:12]
	v_fma_f64 v[9:10], v[27:28], v[55:56], v[9:10]
	v_fma_f64 v[35:36], -v[27:28], v[57:58], v[11:12]
	v_fma_f64 v[37:38], v[25:26], v[57:58], v[9:10]
	ds_read_b128 v[9:12], v30 offset:96
	ds_read_b128 v[25:28], v30 offset:112
	s_waitcnt lgkmcnt(1)
	v_fma_f64 v[35:36], v[9:10], v[59:60], v[35:36]
	v_fma_f64 v[37:38], v[11:12], v[59:60], v[37:38]
	v_fma_f64 v[11:12], -v[11:12], v[61:62], v[35:36]
	v_fma_f64 v[9:10], v[9:10], v[61:62], v[37:38]
	s_waitcnt vmcnt(0)
	v_xor_b32_e32 v35, 0x80000000, v66
	v_cndmask_b32_e64 v66, v66, v35, s0
	s_waitcnt lgkmcnt(0)
	v_fma_f64 v[11:12], v[25:26], v[63:64], v[11:12]
	v_fma_f64 v[9:10], v[27:28], v[63:64], v[9:10]
	v_fma_f64 v[27:28], -v[27:28], v[65:66], v[11:12]
	v_fma_f64 v[25:26], v[25:26], v[65:66], v[9:10]
	s_branch .LBB10_6
.LBB10_11:
	s_or_b32 exec_lo, exec_lo, s7
.LBB10_12:
	s_or_b32 exec_lo, exec_lo, s6
	v_cmp_gt_i32_e32 vcc_lo, s30, v15
	s_and_b32 exec_lo, exec_lo, vcc_lo
	s_cbranch_execz .LBB10_23
; %bb.13:
	v_mul_f64 v[9:10], v[25:26], -v[7:8]
	v_mul_f64 v[11:12], v[5:6], v[25:26]
	v_cmp_neq_f64_e32 vcc_lo, 0, v[1:2]
	v_cmp_neq_f64_e64 s0, 0, v[3:4]
	s_clause 0x1
	s_load_dwordx2 s[12:13], s[4:5], 0x80
	s_load_dwordx4 s[4:7], s[4:5], 0x70
	v_fma_f64 v[5:6], v[5:6], v[27:28], v[9:10]
	v_fma_f64 v[7:8], v[7:8], v[27:28], v[11:12]
	s_waitcnt lgkmcnt(0)
	s_mul_i32 s9, s12, s9
	s_or_b32 s1, vcc_lo, s0
	s_cmp_lg_u32 s10, 1
	s_mul_hi_u32 s10, s12, s8
	s_cselect_b32 s2, -1, 0
	s_mul_i32 s3, s13, s8
	s_mul_i32 s0, s12, s8
	s_and_saveexec_b32 s8, s1
	s_xor_b32 s8, exec_lo, s8
	s_cbranch_execz .LBB10_18
; %bb.14:
	s_add_i32 s1, s10, s9
	s_and_b32 vcc_lo, exec_lo, s2
	s_add_i32 s1, s1, s3
	s_mov_b32 s11, -1
	s_cbranch_vccz .LBB10_16
; %bb.15:
	v_mad_u64_u32 v[9:10], null, s6, v13, 0
	s_lshl_b64 s[12:13], s[0:1], 4
	s_mov_b32 s11, 0
	v_mov_b32_e32 v0, v10
	v_mad_u64_u32 v[10:11], null, s7, v13, v[0:1]
	v_lshlrev_b64 v[11:12], 4, v[15:16]
	v_lshlrev_b64 v[9:10], 4, v[9:10]
	v_add_co_u32 v0, vcc_lo, s4, v9
	v_add_co_ci_u32_e64 v9, null, s5, v10, vcc_lo
	v_add_co_u32 v0, vcc_lo, v0, v11
	v_add_co_ci_u32_e64 v9, null, v9, v12, vcc_lo
	;; [unrolled: 2-line block ×3, first 2 shown]
	global_load_dwordx4 v[9:12], v[17:18], off
	s_waitcnt vmcnt(0)
	v_fma_f64 v[19:20], v[1:2], v[9:10], v[5:6]
	v_fma_f64 v[21:22], v[3:4], v[9:10], v[7:8]
	v_fma_f64 v[9:10], -v[3:4], v[11:12], v[19:20]
	v_fma_f64 v[11:12], v[1:2], v[11:12], v[21:22]
	global_store_dwordx4 v[17:18], v[9:12], off
.LBB10_16:
	s_andn2_b32 vcc_lo, exec_lo, s11
	s_cbranch_vccnz .LBB10_18
; %bb.17:
	v_mul_lo_u32 v0, s7, v15
	v_mul_lo_u32 v11, s6, v16
	v_mad_u64_u32 v[9:10], null, s6, v15, 0
	s_lshl_b64 s[12:13], s[0:1], 4
                                        ; implicit-def: $vgpr15_vgpr16
	v_add3_u32 v10, v10, v11, v0
	v_lshlrev_b64 v[11:12], 4, v[13:14]
	v_lshlrev_b64 v[9:10], 4, v[9:10]
	v_add_co_u32 v0, vcc_lo, s4, v9
	v_add_co_ci_u32_e64 v9, null, s5, v10, vcc_lo
	v_add_co_u32 v0, vcc_lo, v0, v11
	v_add_co_ci_u32_e64 v9, null, v9, v12, vcc_lo
	;; [unrolled: 2-line block ×3, first 2 shown]
	global_load_dwordx4 v[9:12], v[13:14], off
	s_waitcnt vmcnt(0)
	v_fma_f64 v[5:6], v[1:2], v[9:10], v[5:6]
	v_fma_f64 v[7:8], v[3:4], v[9:10], v[7:8]
	v_fma_f64 v[3:4], -v[3:4], v[11:12], v[5:6]
	v_fma_f64 v[5:6], v[1:2], v[11:12], v[7:8]
	global_store_dwordx4 v[13:14], v[3:6], off
                                        ; implicit-def: $vgpr13_vgpr14
                                        ; implicit-def: $vgpr5_vgpr6
.LBB10_18:
	s_andn2_saveexec_b32 s1, s8
	s_cbranch_execz .LBB10_23
; %bb.19:
	s_add_i32 s1, s10, s9
	s_and_b32 vcc_lo, exec_lo, s2
	s_add_i32 s1, s1, s3
	s_mov_b32 s2, -1
	s_cbranch_vccz .LBB10_21
; %bb.20:
	v_mad_u64_u32 v[0:1], null, s6, v13, 0
	s_lshl_b64 s[2:3], s[0:1], 4
	v_mad_u64_u32 v[1:2], null, s7, v13, v[1:2]
	v_lshlrev_b64 v[2:3], 4, v[15:16]
	v_lshlrev_b64 v[0:1], 4, v[0:1]
	v_add_co_u32 v0, vcc_lo, s4, v0
	v_add_co_ci_u32_e64 v1, null, s5, v1, vcc_lo
	v_add_co_u32 v0, vcc_lo, v0, v2
	v_add_co_ci_u32_e64 v1, null, v1, v3, vcc_lo
	;; [unrolled: 2-line block ×3, first 2 shown]
	s_mov_b32 s2, 0
	global_store_dwordx4 v[0:1], v[5:8], off
.LBB10_21:
	s_andn2_b32 vcc_lo, exec_lo, s2
	s_cbranch_vccnz .LBB10_23
; %bb.22:
	v_mul_lo_u32 v2, s7, v15
	v_mul_lo_u32 v3, s6, v16
	v_mad_u64_u32 v[0:1], null, s6, v15, 0
	s_lshl_b64 s[0:1], s[0:1], 4
	v_add3_u32 v1, v1, v3, v2
	v_lshlrev_b64 v[2:3], 4, v[13:14]
	v_lshlrev_b64 v[0:1], 4, v[0:1]
	v_add_co_u32 v0, vcc_lo, s4, v0
	v_add_co_ci_u32_e64 v1, null, s5, v1, vcc_lo
	v_add_co_u32 v0, vcc_lo, v0, v2
	v_add_co_ci_u32_e64 v1, null, v1, v3, vcc_lo
	;; [unrolled: 2-line block ×3, first 2 shown]
	global_store_dwordx4 v[0:1], v[5:8], off
.LBB10_23:
	s_endpgm
	.section	.rodata,"a",@progbits
	.p2align	6, 0x0
	.amdhsa_kernel _ZN9rocsparse31csrmmnn_row_split_shared_kernelILj256ELj8E21rocsparse_complex_numIdEliS2_S2_S2_EEvNS_24const_host_device_scalarIT1_EES5_bbbT3_S6_llPKT2_PKS6_PKT4_PKT5_llPT6_ll16rocsparse_order_21rocsparse_index_base_
		.amdhsa_group_segment_fixed_size 5120
		.amdhsa_private_segment_fixed_size 0
		.amdhsa_kernarg_size 144
		.amdhsa_user_sgpr_count 6
		.amdhsa_user_sgpr_private_segment_buffer 1
		.amdhsa_user_sgpr_dispatch_ptr 0
		.amdhsa_user_sgpr_queue_ptr 0
		.amdhsa_user_sgpr_kernarg_segment_ptr 1
		.amdhsa_user_sgpr_dispatch_id 0
		.amdhsa_user_sgpr_flat_scratch_init 0
		.amdhsa_user_sgpr_private_segment_size 0
		.amdhsa_wavefront_size32 1
		.amdhsa_uses_dynamic_stack 0
		.amdhsa_system_sgpr_private_segment_wavefront_offset 0
		.amdhsa_system_sgpr_workgroup_id_x 1
		.amdhsa_system_sgpr_workgroup_id_y 1
		.amdhsa_system_sgpr_workgroup_id_z 1
		.amdhsa_system_sgpr_workgroup_info 0
		.amdhsa_system_vgpr_workitem_id 0
		.amdhsa_next_free_vgpr 71
		.amdhsa_next_free_sgpr 32
		.amdhsa_reserve_vcc 1
		.amdhsa_reserve_flat_scratch 0
		.amdhsa_float_round_mode_32 0
		.amdhsa_float_round_mode_16_64 0
		.amdhsa_float_denorm_mode_32 3
		.amdhsa_float_denorm_mode_16_64 3
		.amdhsa_dx10_clamp 1
		.amdhsa_ieee_mode 1
		.amdhsa_fp16_overflow 0
		.amdhsa_workgroup_processor_mode 1
		.amdhsa_memory_ordered 1
		.amdhsa_forward_progress 1
		.amdhsa_shared_vgpr_count 0
		.amdhsa_exception_fp_ieee_invalid_op 0
		.amdhsa_exception_fp_denorm_src 0
		.amdhsa_exception_fp_ieee_div_zero 0
		.amdhsa_exception_fp_ieee_overflow 0
		.amdhsa_exception_fp_ieee_underflow 0
		.amdhsa_exception_fp_ieee_inexact 0
		.amdhsa_exception_int_div_zero 0
	.end_amdhsa_kernel
	.section	.text._ZN9rocsparse31csrmmnn_row_split_shared_kernelILj256ELj8E21rocsparse_complex_numIdEliS2_S2_S2_EEvNS_24const_host_device_scalarIT1_EES5_bbbT3_S6_llPKT2_PKS6_PKT4_PKT5_llPT6_ll16rocsparse_order_21rocsparse_index_base_,"axG",@progbits,_ZN9rocsparse31csrmmnn_row_split_shared_kernelILj256ELj8E21rocsparse_complex_numIdEliS2_S2_S2_EEvNS_24const_host_device_scalarIT1_EES5_bbbT3_S6_llPKT2_PKS6_PKT4_PKT5_llPT6_ll16rocsparse_order_21rocsparse_index_base_,comdat
.Lfunc_end10:
	.size	_ZN9rocsparse31csrmmnn_row_split_shared_kernelILj256ELj8E21rocsparse_complex_numIdEliS2_S2_S2_EEvNS_24const_host_device_scalarIT1_EES5_bbbT3_S6_llPKT2_PKS6_PKT4_PKT5_llPT6_ll16rocsparse_order_21rocsparse_index_base_, .Lfunc_end10-_ZN9rocsparse31csrmmnn_row_split_shared_kernelILj256ELj8E21rocsparse_complex_numIdEliS2_S2_S2_EEvNS_24const_host_device_scalarIT1_EES5_bbbT3_S6_llPKT2_PKS6_PKT4_PKT5_llPT6_ll16rocsparse_order_21rocsparse_index_base_
                                        ; -- End function
	.set _ZN9rocsparse31csrmmnn_row_split_shared_kernelILj256ELj8E21rocsparse_complex_numIdEliS2_S2_S2_EEvNS_24const_host_device_scalarIT1_EES5_bbbT3_S6_llPKT2_PKS6_PKT4_PKT5_llPT6_ll16rocsparse_order_21rocsparse_index_base_.num_vgpr, 71
	.set _ZN9rocsparse31csrmmnn_row_split_shared_kernelILj256ELj8E21rocsparse_complex_numIdEliS2_S2_S2_EEvNS_24const_host_device_scalarIT1_EES5_bbbT3_S6_llPKT2_PKS6_PKT4_PKT5_llPT6_ll16rocsparse_order_21rocsparse_index_base_.num_agpr, 0
	.set _ZN9rocsparse31csrmmnn_row_split_shared_kernelILj256ELj8E21rocsparse_complex_numIdEliS2_S2_S2_EEvNS_24const_host_device_scalarIT1_EES5_bbbT3_S6_llPKT2_PKS6_PKT4_PKT5_llPT6_ll16rocsparse_order_21rocsparse_index_base_.numbered_sgpr, 32
	.set _ZN9rocsparse31csrmmnn_row_split_shared_kernelILj256ELj8E21rocsparse_complex_numIdEliS2_S2_S2_EEvNS_24const_host_device_scalarIT1_EES5_bbbT3_S6_llPKT2_PKS6_PKT4_PKT5_llPT6_ll16rocsparse_order_21rocsparse_index_base_.num_named_barrier, 0
	.set _ZN9rocsparse31csrmmnn_row_split_shared_kernelILj256ELj8E21rocsparse_complex_numIdEliS2_S2_S2_EEvNS_24const_host_device_scalarIT1_EES5_bbbT3_S6_llPKT2_PKS6_PKT4_PKT5_llPT6_ll16rocsparse_order_21rocsparse_index_base_.private_seg_size, 0
	.set _ZN9rocsparse31csrmmnn_row_split_shared_kernelILj256ELj8E21rocsparse_complex_numIdEliS2_S2_S2_EEvNS_24const_host_device_scalarIT1_EES5_bbbT3_S6_llPKT2_PKS6_PKT4_PKT5_llPT6_ll16rocsparse_order_21rocsparse_index_base_.uses_vcc, 1
	.set _ZN9rocsparse31csrmmnn_row_split_shared_kernelILj256ELj8E21rocsparse_complex_numIdEliS2_S2_S2_EEvNS_24const_host_device_scalarIT1_EES5_bbbT3_S6_llPKT2_PKS6_PKT4_PKT5_llPT6_ll16rocsparse_order_21rocsparse_index_base_.uses_flat_scratch, 0
	.set _ZN9rocsparse31csrmmnn_row_split_shared_kernelILj256ELj8E21rocsparse_complex_numIdEliS2_S2_S2_EEvNS_24const_host_device_scalarIT1_EES5_bbbT3_S6_llPKT2_PKS6_PKT4_PKT5_llPT6_ll16rocsparse_order_21rocsparse_index_base_.has_dyn_sized_stack, 0
	.set _ZN9rocsparse31csrmmnn_row_split_shared_kernelILj256ELj8E21rocsparse_complex_numIdEliS2_S2_S2_EEvNS_24const_host_device_scalarIT1_EES5_bbbT3_S6_llPKT2_PKS6_PKT4_PKT5_llPT6_ll16rocsparse_order_21rocsparse_index_base_.has_recursion, 0
	.set _ZN9rocsparse31csrmmnn_row_split_shared_kernelILj256ELj8E21rocsparse_complex_numIdEliS2_S2_S2_EEvNS_24const_host_device_scalarIT1_EES5_bbbT3_S6_llPKT2_PKS6_PKT4_PKT5_llPT6_ll16rocsparse_order_21rocsparse_index_base_.has_indirect_call, 0
	.section	.AMDGPU.csdata,"",@progbits
; Kernel info:
; codeLenInByte = 2424
; TotalNumSgprs: 34
; NumVgprs: 71
; ScratchSize: 0
; MemoryBound: 1
; FloatMode: 240
; IeeeMode: 1
; LDSByteSize: 5120 bytes/workgroup (compile time only)
; SGPRBlocks: 0
; VGPRBlocks: 8
; NumSGPRsForWavesPerEU: 34
; NumVGPRsForWavesPerEU: 71
; Occupancy: 12
; WaveLimiterHint : 1
; COMPUTE_PGM_RSRC2:SCRATCH_EN: 0
; COMPUTE_PGM_RSRC2:USER_SGPR: 6
; COMPUTE_PGM_RSRC2:TRAP_HANDLER: 0
; COMPUTE_PGM_RSRC2:TGID_X_EN: 1
; COMPUTE_PGM_RSRC2:TGID_Y_EN: 1
; COMPUTE_PGM_RSRC2:TGID_Z_EN: 1
; COMPUTE_PGM_RSRC2:TIDIG_COMP_CNT: 0
	.section	.text._ZN9rocsparse31csrmmnn_row_split_shared_kernelILj256ELj8E21rocsparse_complex_numIdEllS2_S2_S2_EEvNS_24const_host_device_scalarIT1_EES5_bbbT3_S6_llPKT2_PKS6_PKT4_PKT5_llPT6_ll16rocsparse_order_21rocsparse_index_base_,"axG",@progbits,_ZN9rocsparse31csrmmnn_row_split_shared_kernelILj256ELj8E21rocsparse_complex_numIdEllS2_S2_S2_EEvNS_24const_host_device_scalarIT1_EES5_bbbT3_S6_llPKT2_PKS6_PKT4_PKT5_llPT6_ll16rocsparse_order_21rocsparse_index_base_,comdat
	.protected	_ZN9rocsparse31csrmmnn_row_split_shared_kernelILj256ELj8E21rocsparse_complex_numIdEllS2_S2_S2_EEvNS_24const_host_device_scalarIT1_EES5_bbbT3_S6_llPKT2_PKS6_PKT4_PKT5_llPT6_ll16rocsparse_order_21rocsparse_index_base_ ; -- Begin function _ZN9rocsparse31csrmmnn_row_split_shared_kernelILj256ELj8E21rocsparse_complex_numIdEllS2_S2_S2_EEvNS_24const_host_device_scalarIT1_EES5_bbbT3_S6_llPKT2_PKS6_PKT4_PKT5_llPT6_ll16rocsparse_order_21rocsparse_index_base_
	.globl	_ZN9rocsparse31csrmmnn_row_split_shared_kernelILj256ELj8E21rocsparse_complex_numIdEllS2_S2_S2_EEvNS_24const_host_device_scalarIT1_EES5_bbbT3_S6_llPKT2_PKS6_PKT4_PKT5_llPT6_ll16rocsparse_order_21rocsparse_index_base_
	.p2align	8
	.type	_ZN9rocsparse31csrmmnn_row_split_shared_kernelILj256ELj8E21rocsparse_complex_numIdEllS2_S2_S2_EEvNS_24const_host_device_scalarIT1_EES5_bbbT3_S6_llPKT2_PKS6_PKT4_PKT5_llPT6_ll16rocsparse_order_21rocsparse_index_base_,@function
_ZN9rocsparse31csrmmnn_row_split_shared_kernelILj256ELj8E21rocsparse_complex_numIdEllS2_S2_S2_EEvNS_24const_host_device_scalarIT1_EES5_bbbT3_S6_llPKT2_PKS6_PKT4_PKT5_llPT6_ll16rocsparse_order_21rocsparse_index_base_: ; @_ZN9rocsparse31csrmmnn_row_split_shared_kernelILj256ELj8E21rocsparse_complex_numIdEllS2_S2_S2_EEvNS_24const_host_device_scalarIT1_EES5_bbbT3_S6_llPKT2_PKS6_PKT4_PKT5_llPT6_ll16rocsparse_order_21rocsparse_index_base_
; %bb.0:
	s_clause 0x1
	s_load_dword s1, s[4:5], 0x20
	s_load_dwordx2 s[2:3], s[4:5], 0x0
	s_add_u32 s0, s4, 16
	s_addc_u32 s9, s5, 0
	s_load_dwordx2 s[10:11], s[4:5], 0x10
	s_waitcnt lgkmcnt(0)
	s_bitcmp1_b32 s1, 0
	s_cselect_b32 s2, s4, s2
	s_cselect_b32 s3, s5, s3
	v_mov_b32_e32 v1, s2
	v_mov_b32_e32 v2, s3
	s_cselect_b32 s0, s0, s10
	s_cselect_b32 s2, s9, s11
	flat_load_dwordx4 v[5:8], v[1:2]
	v_mov_b32_e32 v1, s0
	v_mov_b32_e32 v2, s2
	flat_load_dwordx4 v[1:4], v[1:2]
	s_waitcnt vmcnt(1) lgkmcnt(1)
	v_cmp_eq_f64_e32 vcc_lo, 0, v[5:6]
	v_cmp_eq_f64_e64 s0, 0, v[7:8]
	s_and_b32 s3, vcc_lo, s0
	s_mov_b32 s0, -1
	s_and_saveexec_b32 s2, s3
	s_cbranch_execz .LBB11_2
; %bb.1:
	s_waitcnt vmcnt(0) lgkmcnt(0)
	v_cmp_neq_f64_e32 vcc_lo, 1.0, v[1:2]
	v_cmp_neq_f64_e64 s0, 0, v[3:4]
	s_or_b32 s0, vcc_lo, s0
	s_orn2_b32 s0, s0, exec_lo
.LBB11_2:
	s_or_b32 exec_lo, exec_lo, s2
	s_and_saveexec_b32 s2, s0
	s_cbranch_execz .LBB11_23
; %bb.3:
	s_load_dwordx16 s[12:27], s[4:5], 0x28
	v_lshl_or_b32 v9, s6, 8, v0
	v_mov_b32_e32 v14, 0
	v_lshrrev_b32_e32 v13, 3, v9
	s_waitcnt lgkmcnt(0)
	v_cmp_gt_i64_e32 vcc_lo, s[12:13], v[13:14]
	s_and_b32 exec_lo, exec_lo, vcc_lo
	s_cbranch_execz .LBB11_23
; %bb.4:
	s_mul_i32 s0, s17, s8
	s_mul_hi_u32 s2, s16, s8
	v_lshlrev_b32_e32 v9, 3, v13
	s_add_i32 s3, s2, s0
	s_mul_i32 s2, s16, s8
	v_and_b32_e32 v31, 7, v0
	s_lshl_b64 s[2:3], s[2:3], 3
	v_mov_b32_e32 v25, 0
	s_add_u32 s2, s20, s2
	s_addc_u32 s3, s21, s3
	v_mov_b32_e32 v27, 0
	global_load_dwordx4 v[9:12], v9, s[2:3]
	s_clause 0x1
	s_load_dwordx8 s[36:43], s[4:5], 0x68
	s_load_dwordx4 s[28:31], s[4:5], 0x88
	v_mov_b32_e32 v26, 0
	v_lshl_or_b32 v15, s7, 3, v31
	v_mov_b32_e32 v28, 0
	v_mov_b32_e32 v16, v14
	s_mov_b32 s5, 0
	s_mov_b32 s4, exec_lo
	s_waitcnt vmcnt(0)
	v_cmpx_lt_i64_e64 v[9:10], v[11:12]
	s_cbranch_execz .LBB11_12
; %bb.5:
	s_waitcnt lgkmcnt(0)
	v_mad_u64_u32 v[21:22], null, s36, v15, 0
	v_mad_u64_u32 v[23:24], null, s18, s8, v[9:10]
	v_lshrrev_b32_e32 v19, 3, v0
	v_sub_co_u32 v17, vcc_lo, v11, s31
	s_bitcmp1_b32 s1, 8
	v_mov_b32_e32 v11, v22
	v_subrev_co_ci_u32_e64 v18, null, 0, v12, vcc_lo
	s_cselect_b32 vcc_lo, -1, 0
	s_bitcmp1_b32 s1, 16
	v_lshl_or_b32 v0, v19, 6, 0x1000
	v_lshlrev_b32_e32 v32, 7, v19
	v_sub_co_u32 v19, s1, v9, s31
	v_mov_b32_e32 v9, v24
	v_mad_u64_u32 v[11:12], null, s37, v15, v[11:12]
	v_subrev_co_ci_u32_e64 v20, null, 0, v10, s1
	v_mad_u64_u32 v[9:10], null, s19, s8, v[9:10]
	s_mul_i32 s2, s39, s8
	s_mul_hi_u32 s3, s38, s8
	v_mov_b32_e32 v22, v11
	s_cselect_b32 s0, -1, 0
	s_add_i32 s7, s3, s2
	v_add_co_u32 v11, s2, v23, v31
	v_add_co_ci_u32_e64 v12, null, 0, v9, s2
	v_lshlrev_b64 v[9:10], 4, v[21:22]
	v_sub_co_u32 v11, s2, v11, s31
	v_subrev_co_ci_u32_e64 v12, null, 0, v12, s2
	s_mul_i32 s6, s38, s8
	v_add_co_u32 v21, s2, s26, v9
	v_add_co_ci_u32_e64 v22, null, s27, v10, s2
	v_lshlrev_b64 v[9:10], 3, v[11:12]
	s_lshl_b64 s[2:3], s[6:7], 4
	v_lshlrev_b64 v[11:12], 4, v[11:12]
	v_add_co_u32 v35, s2, v21, s2
	v_add_co_ci_u32_e64 v36, null, s3, v22, s2
	v_add_co_u32 v21, s2, s22, v9
	v_add_co_ci_u32_e64 v22, null, s23, v10, s2
	;; [unrolled: 2-line block ×3, first 2 shown]
	v_cmp_gt_i64_e64 s1, s[14:15], v[15:16]
	v_add_co_u32 v23, s2, v9, 8
	v_mov_b32_e32 v25, 0
	v_mov_b32_e32 v27, 0
	v_lshl_or_b32 v33, v31, 3, v0
	v_lshl_or_b32 v34, v31, 4, v32
	v_mov_b32_e32 v26, 0
	v_mov_b32_e32 v28, 0
	v_add_co_ci_u32_e64 v24, null, 0, v10, s2
	s_mov_b32 s6, s31
	s_branch .LBB11_7
.LBB11_6:                               ;   in Loop: Header=BB11_7 Depth=1
	s_or_b32 exec_lo, exec_lo, s3
	v_add_co_u32 v19, s2, v19, 8
	v_add_co_ci_u32_e64 v20, null, 0, v20, s2
	v_add_co_u32 v21, s2, v21, 64
	v_add_co_ci_u32_e64 v22, null, 0, v22, s2
	v_cmp_ge_i64_e64 s2, v[19:20], v[17:18]
	v_add_co_u32 v23, s3, 0x80, v23
	v_add_co_ci_u32_e64 v24, null, 0, v24, s3
	s_or_b32 s5, s2, s5
	s_andn2_b32 exec_lo, exec_lo, s5
	s_cbranch_execz .LBB11_11
.LBB11_7:                               ; =>This Inner Loop Header: Depth=1
	v_add_co_u32 v9, s2, v31, v19
	v_add_co_ci_u32_e64 v10, null, 0, v20, s2
	v_mov_b32_e32 v29, 0
	v_mov_b32_e32 v11, 0
	;; [unrolled: 1-line block ×3, first 2 shown]
	v_cmp_lt_i64_e64 s2, v[9:10], v[17:18]
	v_mov_b32_e32 v9, 0
	v_mov_b32_e32 v10, 0
	;; [unrolled: 1-line block ×3, first 2 shown]
	s_barrier
	buffer_gl0_inv
	s_and_saveexec_b32 s3, s2
	s_cbranch_execz .LBB11_9
; %bb.8:                                ;   in Loop: Header=BB11_7 Depth=1
	global_load_dwordx4 v[9:12], v[23:24], off offset:-8
	global_load_dwordx2 v[29:30], v[21:22], off
	s_waitcnt vmcnt(1)
	v_xor_b32_e32 v37, 0x80000000, v12
	s_waitcnt vmcnt(0)
	v_sub_co_u32 v29, s2, v29, s6
	v_subrev_co_ci_u32_e64 v30, null, 0, v30, s2
	v_cndmask_b32_e32 v12, v12, v37, vcc_lo
.LBB11_9:                               ;   in Loop: Header=BB11_7 Depth=1
	s_or_b32 exec_lo, exec_lo, s3
	ds_write_b64 v33, v[29:30]
	ds_write_b128 v34, v[9:12]
	s_waitcnt lgkmcnt(0)
	s_barrier
	buffer_gl0_inv
	s_and_saveexec_b32 s3, s1
	s_cbranch_execz .LBB11_6
; %bb.10:                               ;   in Loop: Header=BB11_7 Depth=1
	ds_read_b128 v[9:12], v0
	ds_read_b128 v[37:40], v0 offset:16
	s_waitcnt lgkmcnt(1)
	v_lshlrev_b64 v[9:10], 4, v[9:10]
	s_waitcnt lgkmcnt(0)
	v_lshlrev_b64 v[29:30], 4, v[37:38]
	v_add_co_u32 v9, s2, v35, v9
	v_add_co_ci_u32_e64 v10, null, v36, v10, s2
	global_load_dwordx4 v[41:44], v[9:10], off
	v_lshlrev_b64 v[9:10], 4, v[11:12]
	v_add_co_u32 v9, s2, v35, v9
	v_add_co_ci_u32_e64 v10, null, v36, v10, s2
	v_add_co_u32 v29, s2, v35, v29
	v_add_co_ci_u32_e64 v30, null, v36, v30, s2
	s_clause 0x1
	global_load_dwordx4 v[9:12], v[9:10], off
	global_load_dwordx4 v[45:48], v[29:30], off
	v_lshlrev_b64 v[29:30], 4, v[39:40]
	v_add_co_u32 v29, s2, v35, v29
	v_add_co_ci_u32_e64 v30, null, v36, v30, s2
	global_load_dwordx4 v[37:40], v[29:30], off
	ds_read_b128 v[49:52], v0 offset:32
	ds_read_b128 v[53:56], v0 offset:48
	;; [unrolled: 1-line block ×3, first 2 shown]
	s_waitcnt lgkmcnt(2)
	v_lshlrev_b64 v[29:30], 4, v[49:50]
	v_add_co_u32 v29, s2, v35, v29
	v_add_co_ci_u32_e64 v30, null, v36, v30, s2
	global_load_dwordx4 v[57:60], v[29:30], off
	v_lshlrev_b64 v[29:30], 4, v[51:52]
	v_add_co_u32 v29, s2, v35, v29
	v_add_co_ci_u32_e64 v30, null, v36, v30, s2
	global_load_dwordx4 v[49:52], v[29:30], off
	s_waitcnt lgkmcnt(1)
	v_lshlrev_b64 v[29:30], 4, v[53:54]
	v_add_co_u32 v29, s2, v35, v29
	v_add_co_ci_u32_e64 v30, null, v36, v30, s2
	global_load_dwordx4 v[61:64], v[29:30], off
	v_lshlrev_b64 v[29:30], 4, v[55:56]
	ds_read_b128 v[53:56], v32
	v_add_co_u32 v29, s2, v35, v29
	v_add_co_ci_u32_e64 v30, null, v36, v30, s2
	global_load_dwordx4 v[65:68], v[29:30], off
	s_waitcnt vmcnt(7) lgkmcnt(0)
	v_fma_f64 v[27:28], v[53:54], v[41:42], v[27:28]
	v_fma_f64 v[25:26], v[55:56], v[41:42], v[25:26]
	v_xor_b32_e32 v29, 0x80000000, v44
	v_cndmask_b32_e64 v44, v44, v29, s0
	v_fma_f64 v[27:28], -v[55:56], v[43:44], v[27:28]
	v_fma_f64 v[25:26], v[53:54], v[43:44], v[25:26]
	s_waitcnt vmcnt(5)
	v_xor_b32_e32 v43, 0x80000000, v48
	v_cndmask_b32_e64 v48, v48, v43, s0
	v_fma_f64 v[27:28], v[69:70], v[9:10], v[27:28]
	v_fma_f64 v[9:10], v[71:72], v[9:10], v[25:26]
	v_xor_b32_e32 v25, 0x80000000, v12
	v_cndmask_b32_e64 v12, v12, v25, s0
	v_fma_f64 v[29:30], -v[71:72], v[11:12], v[27:28]
	v_fma_f64 v[41:42], v[69:70], v[11:12], v[9:10]
	ds_read_b128 v[9:12], v32 offset:32
	ds_read_b128 v[25:28], v32 offset:48
	s_waitcnt lgkmcnt(1)
	v_fma_f64 v[29:30], v[9:10], v[45:46], v[29:30]
	v_fma_f64 v[41:42], v[11:12], v[45:46], v[41:42]
	v_fma_f64 v[11:12], -v[11:12], v[47:48], v[29:30]
	v_fma_f64 v[9:10], v[9:10], v[47:48], v[41:42]
	s_waitcnt vmcnt(4)
	v_xor_b32_e32 v29, 0x80000000, v40
	v_cndmask_b32_e64 v40, v40, v29, s0
	s_waitcnt lgkmcnt(0)
	v_fma_f64 v[11:12], v[25:26], v[37:38], v[11:12]
	v_fma_f64 v[9:10], v[27:28], v[37:38], v[9:10]
	v_fma_f64 v[29:30], -v[27:28], v[39:40], v[11:12]
	v_fma_f64 v[37:38], v[25:26], v[39:40], v[9:10]
	ds_read_b128 v[9:12], v32 offset:64
	ds_read_b128 v[25:28], v32 offset:80
	s_waitcnt vmcnt(3)
	v_xor_b32_e32 v39, 0x80000000, v60
	v_cndmask_b32_e64 v60, v60, v39, s0
	s_waitcnt vmcnt(1)
	v_xor_b32_e32 v39, 0x80000000, v64
	v_cndmask_b32_e64 v64, v64, v39, s0
	s_waitcnt lgkmcnt(1)
	v_fma_f64 v[29:30], v[9:10], v[57:58], v[29:30]
	v_fma_f64 v[37:38], v[11:12], v[57:58], v[37:38]
	v_fma_f64 v[11:12], -v[11:12], v[59:60], v[29:30]
	v_fma_f64 v[9:10], v[9:10], v[59:60], v[37:38]
	v_xor_b32_e32 v29, 0x80000000, v52
	v_cndmask_b32_e64 v52, v52, v29, s0
	s_waitcnt lgkmcnt(0)
	v_fma_f64 v[11:12], v[25:26], v[49:50], v[11:12]
	v_fma_f64 v[9:10], v[27:28], v[49:50], v[9:10]
	v_fma_f64 v[29:30], -v[27:28], v[51:52], v[11:12]
	v_fma_f64 v[37:38], v[25:26], v[51:52], v[9:10]
	ds_read_b128 v[9:12], v32 offset:96
	ds_read_b128 v[25:28], v32 offset:112
	s_waitcnt lgkmcnt(1)
	v_fma_f64 v[29:30], v[9:10], v[61:62], v[29:30]
	v_fma_f64 v[37:38], v[11:12], v[61:62], v[37:38]
	v_fma_f64 v[11:12], -v[11:12], v[63:64], v[29:30]
	v_fma_f64 v[9:10], v[9:10], v[63:64], v[37:38]
	s_waitcnt vmcnt(0)
	v_xor_b32_e32 v29, 0x80000000, v68
	v_cndmask_b32_e64 v68, v68, v29, s0
	s_waitcnt lgkmcnt(0)
	v_fma_f64 v[11:12], v[25:26], v[65:66], v[11:12]
	v_fma_f64 v[9:10], v[27:28], v[65:66], v[9:10]
	v_fma_f64 v[27:28], -v[27:28], v[67:68], v[11:12]
	v_fma_f64 v[25:26], v[25:26], v[67:68], v[9:10]
	s_branch .LBB11_6
.LBB11_11:
	s_or_b32 exec_lo, exec_lo, s5
.LBB11_12:
	s_or_b32 exec_lo, exec_lo, s4
	v_cmp_gt_i64_e32 vcc_lo, s[14:15], v[15:16]
	s_and_b32 exec_lo, exec_lo, vcc_lo
	s_cbranch_execz .LBB11_23
; %bb.13:
	v_mul_f64 v[9:10], v[25:26], -v[7:8]
	v_mul_f64 v[11:12], v[5:6], v[25:26]
	v_cmp_neq_f64_e32 vcc_lo, 0, v[1:2]
	v_cmp_neq_f64_e64 s0, 0, v[3:4]
	s_waitcnt lgkmcnt(0)
	s_mul_i32 s3, s29, s8
	s_mul_hi_u32 s4, s28, s8
	v_fma_f64 v[5:6], v[5:6], v[27:28], v[9:10]
	v_fma_f64 v[7:8], v[7:8], v[27:28], v[11:12]
	s_or_b32 s1, vcc_lo, s0
	s_cmp_lg_u32 s30, 1
	s_mul_i32 s0, s28, s8
	s_cselect_b32 s2, -1, 0
	s_and_saveexec_b32 s5, s1
	s_xor_b32 s5, exec_lo, s5
	s_cbranch_execz .LBB11_18
; %bb.14:
	s_add_i32 s1, s4, s3
	s_and_b32 vcc_lo, exec_lo, s2
	s_mov_b32 s6, -1
	s_cbranch_vccz .LBB11_16
; %bb.15:
	v_mad_u64_u32 v[9:10], null, s42, v13, 0
	s_lshl_b64 s[6:7], s[0:1], 4
	v_mov_b32_e32 v0, v10
	v_mad_u64_u32 v[10:11], null, s43, v13, v[0:1]
	v_lshlrev_b64 v[11:12], 4, v[15:16]
	v_lshlrev_b64 v[9:10], 4, v[9:10]
	v_add_co_u32 v0, vcc_lo, s40, v9
	v_add_co_ci_u32_e64 v9, null, s41, v10, vcc_lo
	v_add_co_u32 v0, vcc_lo, v0, v11
	v_add_co_ci_u32_e64 v9, null, v9, v12, vcc_lo
	;; [unrolled: 2-line block ×3, first 2 shown]
	s_mov_b32 s6, 0
	global_load_dwordx4 v[9:12], v[16:17], off
	s_waitcnt vmcnt(0)
	v_fma_f64 v[18:19], v[1:2], v[9:10], v[5:6]
	v_fma_f64 v[20:21], v[3:4], v[9:10], v[7:8]
	v_fma_f64 v[9:10], -v[3:4], v[11:12], v[18:19]
	v_fma_f64 v[11:12], v[1:2], v[11:12], v[20:21]
	global_store_dwordx4 v[16:17], v[9:12], off
.LBB11_16:
	s_andn2_b32 vcc_lo, exec_lo, s6
	s_cbranch_vccnz .LBB11_18
; %bb.17:
	v_mad_u64_u32 v[9:10], null, s42, v15, 0
	s_lshl_b64 s[6:7], s[0:1], 4
	v_mov_b32_e32 v0, v10
	v_mad_u64_u32 v[10:11], null, s43, v15, v[0:1]
	v_lshlrev_b64 v[11:12], 4, v[13:14]
                                        ; implicit-def: $vgpr15_vgpr16
	v_lshlrev_b64 v[9:10], 4, v[9:10]
	v_add_co_u32 v0, vcc_lo, s40, v9
	v_add_co_ci_u32_e64 v9, null, s41, v10, vcc_lo
	v_add_co_u32 v0, vcc_lo, v0, v11
	v_add_co_ci_u32_e64 v9, null, v9, v12, vcc_lo
	;; [unrolled: 2-line block ×3, first 2 shown]
	global_load_dwordx4 v[9:12], v[13:14], off
	s_waitcnt vmcnt(0)
	v_fma_f64 v[5:6], v[1:2], v[9:10], v[5:6]
	v_fma_f64 v[7:8], v[3:4], v[9:10], v[7:8]
	v_fma_f64 v[3:4], -v[3:4], v[11:12], v[5:6]
	v_fma_f64 v[5:6], v[1:2], v[11:12], v[7:8]
	global_store_dwordx4 v[13:14], v[3:6], off
                                        ; implicit-def: $vgpr13_vgpr14
                                        ; implicit-def: $vgpr5_vgpr6
.LBB11_18:
	s_andn2_saveexec_b32 s1, s5
	s_cbranch_execz .LBB11_23
; %bb.19:
	s_add_i32 s1, s4, s3
	s_and_b32 vcc_lo, exec_lo, s2
	s_mov_b32 s2, -1
	s_cbranch_vccz .LBB11_21
; %bb.20:
	v_mad_u64_u32 v[0:1], null, s42, v13, 0
	s_lshl_b64 s[2:3], s[0:1], 4
	v_mad_u64_u32 v[1:2], null, s43, v13, v[1:2]
	v_lshlrev_b64 v[2:3], 4, v[15:16]
	v_lshlrev_b64 v[0:1], 4, v[0:1]
	v_add_co_u32 v0, vcc_lo, s40, v0
	v_add_co_ci_u32_e64 v1, null, s41, v1, vcc_lo
	v_add_co_u32 v0, vcc_lo, v0, v2
	v_add_co_ci_u32_e64 v1, null, v1, v3, vcc_lo
	;; [unrolled: 2-line block ×3, first 2 shown]
	s_mov_b32 s2, 0
	global_store_dwordx4 v[0:1], v[5:8], off
.LBB11_21:
	s_andn2_b32 vcc_lo, exec_lo, s2
	s_cbranch_vccnz .LBB11_23
; %bb.22:
	v_mad_u64_u32 v[0:1], null, s42, v15, 0
	s_lshl_b64 s[0:1], s[0:1], 4
	v_mad_u64_u32 v[1:2], null, s43, v15, v[1:2]
	v_lshlrev_b64 v[2:3], 4, v[13:14]
	v_lshlrev_b64 v[0:1], 4, v[0:1]
	v_add_co_u32 v0, vcc_lo, s40, v0
	v_add_co_ci_u32_e64 v1, null, s41, v1, vcc_lo
	v_add_co_u32 v0, vcc_lo, v0, v2
	v_add_co_ci_u32_e64 v1, null, v1, v3, vcc_lo
	;; [unrolled: 2-line block ×3, first 2 shown]
	global_store_dwordx4 v[0:1], v[5:8], off
.LBB11_23:
	s_endpgm
	.section	.rodata,"a",@progbits
	.p2align	6, 0x0
	.amdhsa_kernel _ZN9rocsparse31csrmmnn_row_split_shared_kernelILj256ELj8E21rocsparse_complex_numIdEllS2_S2_S2_EEvNS_24const_host_device_scalarIT1_EES5_bbbT3_S6_llPKT2_PKS6_PKT4_PKT5_llPT6_ll16rocsparse_order_21rocsparse_index_base_
		.amdhsa_group_segment_fixed_size 6144
		.amdhsa_private_segment_fixed_size 0
		.amdhsa_kernarg_size 152
		.amdhsa_user_sgpr_count 6
		.amdhsa_user_sgpr_private_segment_buffer 1
		.amdhsa_user_sgpr_dispatch_ptr 0
		.amdhsa_user_sgpr_queue_ptr 0
		.amdhsa_user_sgpr_kernarg_segment_ptr 1
		.amdhsa_user_sgpr_dispatch_id 0
		.amdhsa_user_sgpr_flat_scratch_init 0
		.amdhsa_user_sgpr_private_segment_size 0
		.amdhsa_wavefront_size32 1
		.amdhsa_uses_dynamic_stack 0
		.amdhsa_system_sgpr_private_segment_wavefront_offset 0
		.amdhsa_system_sgpr_workgroup_id_x 1
		.amdhsa_system_sgpr_workgroup_id_y 1
		.amdhsa_system_sgpr_workgroup_id_z 1
		.amdhsa_system_sgpr_workgroup_info 0
		.amdhsa_system_vgpr_workitem_id 0
		.amdhsa_next_free_vgpr 73
		.amdhsa_next_free_sgpr 44
		.amdhsa_reserve_vcc 1
		.amdhsa_reserve_flat_scratch 0
		.amdhsa_float_round_mode_32 0
		.amdhsa_float_round_mode_16_64 0
		.amdhsa_float_denorm_mode_32 3
		.amdhsa_float_denorm_mode_16_64 3
		.amdhsa_dx10_clamp 1
		.amdhsa_ieee_mode 1
		.amdhsa_fp16_overflow 0
		.amdhsa_workgroup_processor_mode 1
		.amdhsa_memory_ordered 1
		.amdhsa_forward_progress 1
		.amdhsa_shared_vgpr_count 0
		.amdhsa_exception_fp_ieee_invalid_op 0
		.amdhsa_exception_fp_denorm_src 0
		.amdhsa_exception_fp_ieee_div_zero 0
		.amdhsa_exception_fp_ieee_overflow 0
		.amdhsa_exception_fp_ieee_underflow 0
		.amdhsa_exception_fp_ieee_inexact 0
		.amdhsa_exception_int_div_zero 0
	.end_amdhsa_kernel
	.section	.text._ZN9rocsparse31csrmmnn_row_split_shared_kernelILj256ELj8E21rocsparse_complex_numIdEllS2_S2_S2_EEvNS_24const_host_device_scalarIT1_EES5_bbbT3_S6_llPKT2_PKS6_PKT4_PKT5_llPT6_ll16rocsparse_order_21rocsparse_index_base_,"axG",@progbits,_ZN9rocsparse31csrmmnn_row_split_shared_kernelILj256ELj8E21rocsparse_complex_numIdEllS2_S2_S2_EEvNS_24const_host_device_scalarIT1_EES5_bbbT3_S6_llPKT2_PKS6_PKT4_PKT5_llPT6_ll16rocsparse_order_21rocsparse_index_base_,comdat
.Lfunc_end11:
	.size	_ZN9rocsparse31csrmmnn_row_split_shared_kernelILj256ELj8E21rocsparse_complex_numIdEllS2_S2_S2_EEvNS_24const_host_device_scalarIT1_EES5_bbbT3_S6_llPKT2_PKS6_PKT4_PKT5_llPT6_ll16rocsparse_order_21rocsparse_index_base_, .Lfunc_end11-_ZN9rocsparse31csrmmnn_row_split_shared_kernelILj256ELj8E21rocsparse_complex_numIdEllS2_S2_S2_EEvNS_24const_host_device_scalarIT1_EES5_bbbT3_S6_llPKT2_PKS6_PKT4_PKT5_llPT6_ll16rocsparse_order_21rocsparse_index_base_
                                        ; -- End function
	.set _ZN9rocsparse31csrmmnn_row_split_shared_kernelILj256ELj8E21rocsparse_complex_numIdEllS2_S2_S2_EEvNS_24const_host_device_scalarIT1_EES5_bbbT3_S6_llPKT2_PKS6_PKT4_PKT5_llPT6_ll16rocsparse_order_21rocsparse_index_base_.num_vgpr, 73
	.set _ZN9rocsparse31csrmmnn_row_split_shared_kernelILj256ELj8E21rocsparse_complex_numIdEllS2_S2_S2_EEvNS_24const_host_device_scalarIT1_EES5_bbbT3_S6_llPKT2_PKS6_PKT4_PKT5_llPT6_ll16rocsparse_order_21rocsparse_index_base_.num_agpr, 0
	.set _ZN9rocsparse31csrmmnn_row_split_shared_kernelILj256ELj8E21rocsparse_complex_numIdEllS2_S2_S2_EEvNS_24const_host_device_scalarIT1_EES5_bbbT3_S6_llPKT2_PKS6_PKT4_PKT5_llPT6_ll16rocsparse_order_21rocsparse_index_base_.numbered_sgpr, 44
	.set _ZN9rocsparse31csrmmnn_row_split_shared_kernelILj256ELj8E21rocsparse_complex_numIdEllS2_S2_S2_EEvNS_24const_host_device_scalarIT1_EES5_bbbT3_S6_llPKT2_PKS6_PKT4_PKT5_llPT6_ll16rocsparse_order_21rocsparse_index_base_.num_named_barrier, 0
	.set _ZN9rocsparse31csrmmnn_row_split_shared_kernelILj256ELj8E21rocsparse_complex_numIdEllS2_S2_S2_EEvNS_24const_host_device_scalarIT1_EES5_bbbT3_S6_llPKT2_PKS6_PKT4_PKT5_llPT6_ll16rocsparse_order_21rocsparse_index_base_.private_seg_size, 0
	.set _ZN9rocsparse31csrmmnn_row_split_shared_kernelILj256ELj8E21rocsparse_complex_numIdEllS2_S2_S2_EEvNS_24const_host_device_scalarIT1_EES5_bbbT3_S6_llPKT2_PKS6_PKT4_PKT5_llPT6_ll16rocsparse_order_21rocsparse_index_base_.uses_vcc, 1
	.set _ZN9rocsparse31csrmmnn_row_split_shared_kernelILj256ELj8E21rocsparse_complex_numIdEllS2_S2_S2_EEvNS_24const_host_device_scalarIT1_EES5_bbbT3_S6_llPKT2_PKS6_PKT4_PKT5_llPT6_ll16rocsparse_order_21rocsparse_index_base_.uses_flat_scratch, 0
	.set _ZN9rocsparse31csrmmnn_row_split_shared_kernelILj256ELj8E21rocsparse_complex_numIdEllS2_S2_S2_EEvNS_24const_host_device_scalarIT1_EES5_bbbT3_S6_llPKT2_PKS6_PKT4_PKT5_llPT6_ll16rocsparse_order_21rocsparse_index_base_.has_dyn_sized_stack, 0
	.set _ZN9rocsparse31csrmmnn_row_split_shared_kernelILj256ELj8E21rocsparse_complex_numIdEllS2_S2_S2_EEvNS_24const_host_device_scalarIT1_EES5_bbbT3_S6_llPKT2_PKS6_PKT4_PKT5_llPT6_ll16rocsparse_order_21rocsparse_index_base_.has_recursion, 0
	.set _ZN9rocsparse31csrmmnn_row_split_shared_kernelILj256ELj8E21rocsparse_complex_numIdEllS2_S2_S2_EEvNS_24const_host_device_scalarIT1_EES5_bbbT3_S6_llPKT2_PKS6_PKT4_PKT5_llPT6_ll16rocsparse_order_21rocsparse_index_base_.has_indirect_call, 0
	.section	.AMDGPU.csdata,"",@progbits
; Kernel info:
; codeLenInByte = 2320
; TotalNumSgprs: 46
; NumVgprs: 73
; ScratchSize: 0
; MemoryBound: 1
; FloatMode: 240
; IeeeMode: 1
; LDSByteSize: 6144 bytes/workgroup (compile time only)
; SGPRBlocks: 0
; VGPRBlocks: 9
; NumSGPRsForWavesPerEU: 46
; NumVGPRsForWavesPerEU: 73
; Occupancy: 12
; WaveLimiterHint : 0
; COMPUTE_PGM_RSRC2:SCRATCH_EN: 0
; COMPUTE_PGM_RSRC2:USER_SGPR: 6
; COMPUTE_PGM_RSRC2:TRAP_HANDLER: 0
; COMPUTE_PGM_RSRC2:TGID_X_EN: 1
; COMPUTE_PGM_RSRC2:TGID_Y_EN: 1
; COMPUTE_PGM_RSRC2:TGID_Z_EN: 1
; COMPUTE_PGM_RSRC2:TIDIG_COMP_CNT: 0
	.section	.text._ZN9rocsparse31csrmmnn_row_split_shared_kernelILj256ELj8EfiiDF16_DF16_fEEvNS_24const_host_device_scalarIT1_EES3_bbbT3_S4_llPKT2_PKS4_PKT4_PKT5_llPT6_ll16rocsparse_order_21rocsparse_index_base_,"axG",@progbits,_ZN9rocsparse31csrmmnn_row_split_shared_kernelILj256ELj8EfiiDF16_DF16_fEEvNS_24const_host_device_scalarIT1_EES3_bbbT3_S4_llPKT2_PKS4_PKT4_PKT5_llPT6_ll16rocsparse_order_21rocsparse_index_base_,comdat
	.protected	_ZN9rocsparse31csrmmnn_row_split_shared_kernelILj256ELj8EfiiDF16_DF16_fEEvNS_24const_host_device_scalarIT1_EES3_bbbT3_S4_llPKT2_PKS4_PKT4_PKT5_llPT6_ll16rocsparse_order_21rocsparse_index_base_ ; -- Begin function _ZN9rocsparse31csrmmnn_row_split_shared_kernelILj256ELj8EfiiDF16_DF16_fEEvNS_24const_host_device_scalarIT1_EES3_bbbT3_S4_llPKT2_PKS4_PKT4_PKT5_llPT6_ll16rocsparse_order_21rocsparse_index_base_
	.globl	_ZN9rocsparse31csrmmnn_row_split_shared_kernelILj256ELj8EfiiDF16_DF16_fEEvNS_24const_host_device_scalarIT1_EES3_bbbT3_S4_llPKT2_PKS4_PKT4_PKT5_llPT6_ll16rocsparse_order_21rocsparse_index_base_
	.p2align	8
	.type	_ZN9rocsparse31csrmmnn_row_split_shared_kernelILj256ELj8EfiiDF16_DF16_fEEvNS_24const_host_device_scalarIT1_EES3_bbbT3_S4_llPKT2_PKS4_PKT4_PKT5_llPT6_ll16rocsparse_order_21rocsparse_index_base_,@function
_ZN9rocsparse31csrmmnn_row_split_shared_kernelILj256ELj8EfiiDF16_DF16_fEEvNS_24const_host_device_scalarIT1_EES3_bbbT3_S4_llPKT2_PKS4_PKT4_PKT5_llPT6_ll16rocsparse_order_21rocsparse_index_base_: ; @_ZN9rocsparse31csrmmnn_row_split_shared_kernelILj256ELj8EfiiDF16_DF16_fEEvNS_24const_host_device_scalarIT1_EES3_bbbT3_S4_llPKT2_PKS4_PKT4_PKT5_llPT6_ll16rocsparse_order_21rocsparse_index_base_
; %bb.0:
	s_load_dwordx8 s[36:43], s[4:5], 0x0
	s_waitcnt lgkmcnt(0)
	s_bitcmp1_b32 s40, 0
	s_cselect_b32 s0, -1, 0
	s_and_b32 vcc_lo, exec_lo, s0
	s_xor_b32 s0, s0, -1
	s_cbranch_vccnz .LBB12_2
; %bb.1:
	s_load_dword s36, s[36:37], 0x0
.LBB12_2:
	s_andn2_b32 vcc_lo, exec_lo, s0
	s_cbranch_vccnz .LBB12_4
; %bb.3:
	s_load_dword s38, s[38:39], 0x0
.LBB12_4:
	s_waitcnt lgkmcnt(0)
	v_cmp_eq_f32_e64 s0, s36, 0
	v_cmp_eq_f32_e64 s1, s38, 1.0
	s_and_b32 s0, s0, s1
	s_and_b32 vcc_lo, exec_lo, s0
	s_cbranch_vccnz .LBB12_21
; %bb.5:
	v_lshl_or_b32 v1, s6, 8, v0
	s_mov_b32 s0, exec_lo
	v_lshrrev_b32_e32 v6, 3, v1
	v_cmpx_gt_i32_e64 s41, v6
	s_cbranch_execz .LBB12_21
; %bb.6:
	s_load_dwordx16 s[12:27], s[4:5], 0x20
	s_ashr_i32 s6, s8, 31
	v_lshlrev_b32_e32 v5, 2, v6
	s_load_dwordx2 s[10:11], s[4:5], 0x78
	v_and_b32_e32 v7, 7, v0
	v_mov_b32_e32 v11, 0
	v_lshl_or_b32 v1, s7, 3, v7
	v_ashrrev_i32_e32 v2, 31, v1
	s_waitcnt lgkmcnt(0)
	s_mul_hi_u32 s0, s12, s8
	s_mul_i32 s1, s12, s6
	s_mul_i32 s2, s13, s8
	s_add_i32 s1, s0, s1
	s_mul_i32 s0, s12, s8
	s_add_i32 s1, s1, s2
	s_lshl_b64 s[0:1], s[0:1], 2
	s_add_u32 s0, s16, s0
	s_addc_u32 s1, s17, s1
	global_load_dwordx2 v[3:4], v5, s[0:1]
	s_mov_b32 s1, exec_lo
	s_waitcnt vmcnt(0)
	v_cmpx_lt_i32_e64 v3, v4
	s_cbranch_execz .LBB12_14
; %bb.7:
	v_mul_lo_u32 v9, s25, v1
	v_mul_lo_u32 v10, s24, v2
	v_mad_u64_u32 v[11:12], null, s24, v1, 0
	v_lshlrev_b32_e32 v0, 2, v0
	s_mul_i32 s0, s14, s6
	s_mul_hi_u32 s2, s14, s8
	v_lshlrev_b32_e32 v13, 2, v7
	s_add_i32 s7, s2, s0
	v_and_b32_e32 v0, 0x3e0, v0
	v_add3_u32 v12, v12, v10, v9
	s_mul_i32 s0, s26, s6
	s_mul_hi_u32 s2, s26, s8
	v_subrev_nc_u32_e32 v4, s11, v4
	v_or_b32_e32 v8, 0x400, v0
	v_lshlrev_b64 v[11:12], 1, v[11:12]
	s_add_i32 s0, s2, s0
	s_mul_i32 s2, s27, s8
	v_or_b32_e32 v9, v0, v13
	s_add_i32 s3, s0, s2
	s_mul_i32 s2, s26, s8
	v_add_co_u32 v11, s0, s22, v11
	v_or_b32_e32 v10, v8, v13
	v_add_co_ci_u32_e64 v13, null, s23, v12, s0
	s_lshl_b64 s[2:3], s[2:3], 1
	v_subrev_nc_u32_e32 v3, s11, v3
	v_add_co_u32 v12, s0, v11, s2
	v_add_co_ci_u32_e64 v13, null, s3, v13, s0
	v_mov_b32_e32 v11, 0
	s_mul_i32 s9, s15, s8
	s_mov_b32 s3, 0
	s_add_i32 s2, s7, s9
	s_mul_i32 s7, s14, s8
	v_cmp_gt_i32_e32 vcc_lo, s42, v1
	s_branch .LBB12_9
.LBB12_8:                               ;   in Loop: Header=BB12_9 Depth=1
	s_or_b32 exec_lo, exec_lo, s9
	v_add_nc_u32_e32 v3, 8, v3
	v_cmp_ge_i32_e64 s0, v3, v4
	s_or_b32 s3, s0, s3
	s_andn2_b32 exec_lo, exec_lo, s3
	s_cbranch_execz .LBB12_13
.LBB12_9:                               ; =>This Inner Loop Header: Depth=1
	v_add_nc_u32_e32 v15, v7, v3
	v_mov_b32_e32 v14, 0
	v_mov_b32_e32 v16, 0
	s_mov_b32 s9, exec_lo
	s_barrier
	buffer_gl0_inv
	v_cmpx_lt_i32_e64 v15, v4
	s_cbranch_execz .LBB12_11
; %bb.10:                               ;   in Loop: Header=BB12_9 Depth=1
	v_ashrrev_i32_e32 v16, 31, v15
	v_add_co_u32 v14, s0, s7, v15
	v_add_co_ci_u32_e64 v15, null, s2, v16, s0
	v_lshlrev_b64 v[16:17], 2, v[14:15]
	v_lshlrev_b64 v[14:15], 1, v[14:15]
	v_add_co_u32 v16, s0, s18, v16
	v_add_co_ci_u32_e64 v17, null, s19, v17, s0
	v_add_co_u32 v14, s0, s20, v14
	v_add_co_ci_u32_e64 v15, null, s21, v15, s0
	global_load_dword v16, v[16:17], off
	global_load_ushort v15, v[14:15], off
	s_waitcnt vmcnt(1)
	v_subrev_nc_u32_e32 v14, s11, v16
	s_waitcnt vmcnt(0)
	v_cvt_f32_f16_e32 v16, v15
.LBB12_11:                              ;   in Loop: Header=BB12_9 Depth=1
	s_or_b32 exec_lo, exec_lo, s9
	ds_write_b32 v9, v14
	ds_write_b32 v10, v16
	s_waitcnt lgkmcnt(0)
	s_barrier
	buffer_gl0_inv
	s_and_saveexec_b32 s9, vcc_lo
	s_cbranch_execz .LBB12_8
; %bb.12:                               ;   in Loop: Header=BB12_9 Depth=1
	ds_read_b128 v[14:17], v0
	ds_read_b128 v[18:21], v0 offset:16
	s_waitcnt lgkmcnt(1)
	v_ashrrev_i32_e32 v23, 31, v14
	v_mov_b32_e32 v22, v14
	v_ashrrev_i32_e32 v25, 31, v15
	v_mov_b32_e32 v24, v15
	;; [unrolled: 2-line block ×3, first 2 shown]
	v_lshlrev_b64 v[22:23], 1, v[22:23]
	v_ashrrev_i32_e32 v27, 31, v17
	v_mov_b32_e32 v26, v17
	v_lshlrev_b64 v[24:25], 1, v[24:25]
	v_lshlrev_b64 v[14:15], 1, v[14:15]
	s_waitcnt lgkmcnt(0)
	v_ashrrev_i32_e32 v17, 31, v18
	v_add_co_u32 v22, s0, v12, v22
	v_lshlrev_b64 v[26:27], 1, v[26:27]
	v_add_co_ci_u32_e64 v23, null, v13, v23, s0
	v_add_co_u32 v24, s0, v12, v24
	v_add_co_ci_u32_e64 v25, null, v13, v25, s0
	v_add_co_u32 v14, s0, v12, v14
	v_add_co_ci_u32_e64 v15, null, v13, v15, s0
	v_add_co_u32 v26, s0, v12, v26
	v_mov_b32_e32 v16, v18
	v_add_co_ci_u32_e64 v27, null, v13, v27, s0
	v_ashrrev_i32_e32 v29, 31, v19
	v_mov_b32_e32 v28, v19
	s_clause 0x3
	global_load_ushort v23, v[22:23], off
	global_load_ushort v24, v[24:25], off
	;; [unrolled: 1-line block ×4, first 2 shown]
	v_lshlrev_b64 v[16:17], 1, v[16:17]
	v_ashrrev_i32_e32 v19, 31, v20
	v_mov_b32_e32 v18, v20
	v_lshlrev_b64 v[14:15], 1, v[28:29]
	v_ashrrev_i32_e32 v22, 31, v21
	v_add_co_u32 v16, s0, v12, v16
	v_add_co_ci_u32_e64 v17, null, v13, v17, s0
	v_add_co_u32 v14, s0, v12, v14
	v_add_co_ci_u32_e64 v15, null, v13, v15, s0
	v_lshlrev_b64 v[18:19], 1, v[18:19]
	s_clause 0x1
	global_load_ushort v27, v[16:17], off
	global_load_ushort v28, v[14:15], off
	v_lshlrev_b64 v[14:15], 1, v[21:22]
	v_add_co_u32 v16, s0, v12, v18
	v_add_co_ci_u32_e64 v17, null, v13, v19, s0
	v_add_co_u32 v14, s0, v12, v14
	v_add_co_ci_u32_e64 v15, null, v13, v15, s0
	s_clause 0x1
	global_load_ushort v22, v[16:17], off
	global_load_ushort v29, v[14:15], off
	ds_read_b128 v[14:17], v8
	ds_read_b128 v[18:21], v8 offset:16
	s_waitcnt vmcnt(7) lgkmcnt(1)
	v_fma_mix_f32 v11, v14, v23, v11 op_sel_hi:[0,1,0]
	s_waitcnt vmcnt(6)
	v_fma_mix_f32 v11, v15, v24, v11 op_sel_hi:[0,1,0]
	s_waitcnt vmcnt(5)
	;; [unrolled: 2-line block ×3, first 2 shown]
	v_fma_mix_f32 v11, v17, v26, v11 op_sel_hi:[0,1,0]
	s_waitcnt vmcnt(3) lgkmcnt(0)
	v_fma_mix_f32 v11, v18, v27, v11 op_sel_hi:[0,1,0]
	s_waitcnt vmcnt(2)
	v_fma_mix_f32 v11, v19, v28, v11 op_sel_hi:[0,1,0]
	s_waitcnt vmcnt(1)
	v_fma_mix_f32 v11, v20, v22, v11 op_sel_hi:[0,1,0]
	s_waitcnt vmcnt(0)
	v_fma_mix_f32 v11, v21, v29, v11 op_sel_hi:[0,1,0]
	s_branch .LBB12_8
.LBB12_13:
	s_or_b32 exec_lo, exec_lo, s3
.LBB12_14:
	s_or_b32 exec_lo, exec_lo, s1
	v_cmp_gt_i32_e32 vcc_lo, s42, v1
	s_and_b32 exec_lo, exec_lo, vcc_lo
	s_cbranch_execz .LBB12_21
; %bb.15:
	s_clause 0x1
	s_load_dwordx2 s[12:13], s[4:5], 0x70
	s_load_dwordx4 s[0:3], s[4:5], 0x60
	v_cmp_neq_f32_e64 s4, s38, 0
	v_mul_f32_e32 v0, s36, v11
	s_cmp_lg_u32 s10, 1
	s_cselect_b32 s7, -1, 0
	s_and_b32 vcc_lo, exec_lo, s4
	s_waitcnt lgkmcnt(0)
	s_mul_i32 s9, s12, s6
	s_mul_hi_u32 s10, s12, s8
	s_mul_i32 s6, s13, s8
	s_mul_i32 s4, s12, s8
	s_cbranch_vccz .LBB12_22
; %bb.16:
	s_add_i32 s5, s10, s9
	s_and_b32 vcc_lo, exec_lo, s7
	s_add_i32 s5, s5, s6
	s_mov_b32 s8, -1
	s_cbranch_vccz .LBB12_18
; %bb.17:
	v_mad_u64_u32 v[3:4], null, s2, v6, 0
	s_lshl_b64 s[12:13], s[4:5], 2
	s_mov_b32 s8, 0
	v_mad_u64_u32 v[7:8], null, s3, v6, v[4:5]
	v_mov_b32_e32 v4, v7
	v_lshlrev_b64 v[7:8], 2, v[1:2]
	v_lshlrev_b64 v[3:4], 2, v[3:4]
	v_add_co_u32 v3, vcc_lo, s0, v3
	v_add_co_ci_u32_e64 v4, null, s1, v4, vcc_lo
	v_add_co_u32 v3, vcc_lo, v3, v7
	v_add_co_ci_u32_e64 v4, null, v4, v8, vcc_lo
	;; [unrolled: 2-line block ×3, first 2 shown]
	global_load_dword v7, v[3:4], off
	s_waitcnt vmcnt(0)
	v_fma_f32 v7, s38, v7, v0
	global_store_dword v[3:4], v7, off
.LBB12_18:
	s_andn2_b32 vcc_lo, exec_lo, s8
	s_cbranch_vccnz .LBB12_20
; %bb.19:
	v_mul_lo_u32 v7, s3, v1
	v_mul_lo_u32 v8, s2, v2
	v_mad_u64_u32 v[3:4], null, s2, v1, 0
	s_lshl_b64 s[12:13], s[4:5], 2
	v_add3_u32 v4, v4, v8, v7
	v_lshlrev_b64 v[3:4], 2, v[3:4]
	v_add_co_u32 v3, vcc_lo, s0, v3
	v_add_co_ci_u32_e64 v4, null, s1, v4, vcc_lo
	v_add_co_u32 v3, vcc_lo, v3, v5
	v_add_co_ci_u32_e64 v4, null, 0, v4, vcc_lo
	v_add_co_u32 v3, vcc_lo, v3, s12
	v_add_co_ci_u32_e64 v4, null, s13, v4, vcc_lo
	global_load_dword v7, v[3:4], off
	s_waitcnt vmcnt(0)
	v_fma_f32 v7, s38, v7, v0
	global_store_dword v[3:4], v7, off
.LBB12_20:
	s_cbranch_execz .LBB12_23
.LBB12_21:
	s_endpgm
.LBB12_22:
.LBB12_23:
	s_add_i32 s5, s10, s9
	s_and_b32 vcc_lo, exec_lo, s7
	s_add_i32 s5, s5, s6
	s_mov_b32 s6, -1
	s_cbranch_vccz .LBB12_25
; %bb.24:
	v_mad_u64_u32 v[3:4], null, s2, v6, 0
	s_lshl_b64 s[6:7], s[4:5], 2
	v_mad_u64_u32 v[6:7], null, s3, v6, v[4:5]
	v_mov_b32_e32 v4, v6
	v_lshlrev_b64 v[6:7], 2, v[1:2]
	v_lshlrev_b64 v[3:4], 2, v[3:4]
	v_add_co_u32 v3, vcc_lo, s0, v3
	v_add_co_ci_u32_e64 v4, null, s1, v4, vcc_lo
	v_add_co_u32 v3, vcc_lo, v3, v6
	v_add_co_ci_u32_e64 v4, null, v4, v7, vcc_lo
	;; [unrolled: 2-line block ×3, first 2 shown]
	s_mov_b32 s6, 0
	global_store_dword v[3:4], v0, off
.LBB12_25:
	s_andn2_b32 vcc_lo, exec_lo, s6
	s_cbranch_vccnz .LBB12_21
; %bb.26:
	v_mul_lo_u32 v3, s3, v1
	v_mul_lo_u32 v4, s2, v2
	v_mad_u64_u32 v[1:2], null, s2, v1, 0
	v_add3_u32 v2, v2, v4, v3
	v_lshlrev_b64 v[1:2], 2, v[1:2]
	v_add_co_u32 v1, vcc_lo, s0, v1
	v_add_co_ci_u32_e64 v2, null, s1, v2, vcc_lo
	s_lshl_b64 s[0:1], s[4:5], 2
	v_add_co_u32 v1, vcc_lo, v1, v5
	v_add_co_ci_u32_e64 v2, null, 0, v2, vcc_lo
	v_add_co_u32 v1, vcc_lo, v1, s0
	v_add_co_ci_u32_e64 v2, null, s1, v2, vcc_lo
	global_store_dword v[1:2], v0, off
	s_endpgm
	.section	.rodata,"a",@progbits
	.p2align	6, 0x0
	.amdhsa_kernel _ZN9rocsparse31csrmmnn_row_split_shared_kernelILj256ELj8EfiiDF16_DF16_fEEvNS_24const_host_device_scalarIT1_EES3_bbbT3_S4_llPKT2_PKS4_PKT4_PKT5_llPT6_ll16rocsparse_order_21rocsparse_index_base_
		.amdhsa_group_segment_fixed_size 2048
		.amdhsa_private_segment_fixed_size 0
		.amdhsa_kernarg_size 128
		.amdhsa_user_sgpr_count 6
		.amdhsa_user_sgpr_private_segment_buffer 1
		.amdhsa_user_sgpr_dispatch_ptr 0
		.amdhsa_user_sgpr_queue_ptr 0
		.amdhsa_user_sgpr_kernarg_segment_ptr 1
		.amdhsa_user_sgpr_dispatch_id 0
		.amdhsa_user_sgpr_flat_scratch_init 0
		.amdhsa_user_sgpr_private_segment_size 0
		.amdhsa_wavefront_size32 1
		.amdhsa_uses_dynamic_stack 0
		.amdhsa_system_sgpr_private_segment_wavefront_offset 0
		.amdhsa_system_sgpr_workgroup_id_x 1
		.amdhsa_system_sgpr_workgroup_id_y 1
		.amdhsa_system_sgpr_workgroup_id_z 1
		.amdhsa_system_sgpr_workgroup_info 0
		.amdhsa_system_vgpr_workitem_id 0
		.amdhsa_next_free_vgpr 30
		.amdhsa_next_free_sgpr 44
		.amdhsa_reserve_vcc 1
		.amdhsa_reserve_flat_scratch 0
		.amdhsa_float_round_mode_32 0
		.amdhsa_float_round_mode_16_64 0
		.amdhsa_float_denorm_mode_32 3
		.amdhsa_float_denorm_mode_16_64 3
		.amdhsa_dx10_clamp 1
		.amdhsa_ieee_mode 1
		.amdhsa_fp16_overflow 0
		.amdhsa_workgroup_processor_mode 1
		.amdhsa_memory_ordered 1
		.amdhsa_forward_progress 1
		.amdhsa_shared_vgpr_count 0
		.amdhsa_exception_fp_ieee_invalid_op 0
		.amdhsa_exception_fp_denorm_src 0
		.amdhsa_exception_fp_ieee_div_zero 0
		.amdhsa_exception_fp_ieee_overflow 0
		.amdhsa_exception_fp_ieee_underflow 0
		.amdhsa_exception_fp_ieee_inexact 0
		.amdhsa_exception_int_div_zero 0
	.end_amdhsa_kernel
	.section	.text._ZN9rocsparse31csrmmnn_row_split_shared_kernelILj256ELj8EfiiDF16_DF16_fEEvNS_24const_host_device_scalarIT1_EES3_bbbT3_S4_llPKT2_PKS4_PKT4_PKT5_llPT6_ll16rocsparse_order_21rocsparse_index_base_,"axG",@progbits,_ZN9rocsparse31csrmmnn_row_split_shared_kernelILj256ELj8EfiiDF16_DF16_fEEvNS_24const_host_device_scalarIT1_EES3_bbbT3_S4_llPKT2_PKS4_PKT4_PKT5_llPT6_ll16rocsparse_order_21rocsparse_index_base_,comdat
.Lfunc_end12:
	.size	_ZN9rocsparse31csrmmnn_row_split_shared_kernelILj256ELj8EfiiDF16_DF16_fEEvNS_24const_host_device_scalarIT1_EES3_bbbT3_S4_llPKT2_PKS4_PKT4_PKT5_llPT6_ll16rocsparse_order_21rocsparse_index_base_, .Lfunc_end12-_ZN9rocsparse31csrmmnn_row_split_shared_kernelILj256ELj8EfiiDF16_DF16_fEEvNS_24const_host_device_scalarIT1_EES3_bbbT3_S4_llPKT2_PKS4_PKT4_PKT5_llPT6_ll16rocsparse_order_21rocsparse_index_base_
                                        ; -- End function
	.set _ZN9rocsparse31csrmmnn_row_split_shared_kernelILj256ELj8EfiiDF16_DF16_fEEvNS_24const_host_device_scalarIT1_EES3_bbbT3_S4_llPKT2_PKS4_PKT4_PKT5_llPT6_ll16rocsparse_order_21rocsparse_index_base_.num_vgpr, 30
	.set _ZN9rocsparse31csrmmnn_row_split_shared_kernelILj256ELj8EfiiDF16_DF16_fEEvNS_24const_host_device_scalarIT1_EES3_bbbT3_S4_llPKT2_PKS4_PKT4_PKT5_llPT6_ll16rocsparse_order_21rocsparse_index_base_.num_agpr, 0
	.set _ZN9rocsparse31csrmmnn_row_split_shared_kernelILj256ELj8EfiiDF16_DF16_fEEvNS_24const_host_device_scalarIT1_EES3_bbbT3_S4_llPKT2_PKS4_PKT4_PKT5_llPT6_ll16rocsparse_order_21rocsparse_index_base_.numbered_sgpr, 44
	.set _ZN9rocsparse31csrmmnn_row_split_shared_kernelILj256ELj8EfiiDF16_DF16_fEEvNS_24const_host_device_scalarIT1_EES3_bbbT3_S4_llPKT2_PKS4_PKT4_PKT5_llPT6_ll16rocsparse_order_21rocsparse_index_base_.num_named_barrier, 0
	.set _ZN9rocsparse31csrmmnn_row_split_shared_kernelILj256ELj8EfiiDF16_DF16_fEEvNS_24const_host_device_scalarIT1_EES3_bbbT3_S4_llPKT2_PKS4_PKT4_PKT5_llPT6_ll16rocsparse_order_21rocsparse_index_base_.private_seg_size, 0
	.set _ZN9rocsparse31csrmmnn_row_split_shared_kernelILj256ELj8EfiiDF16_DF16_fEEvNS_24const_host_device_scalarIT1_EES3_bbbT3_S4_llPKT2_PKS4_PKT4_PKT5_llPT6_ll16rocsparse_order_21rocsparse_index_base_.uses_vcc, 1
	.set _ZN9rocsparse31csrmmnn_row_split_shared_kernelILj256ELj8EfiiDF16_DF16_fEEvNS_24const_host_device_scalarIT1_EES3_bbbT3_S4_llPKT2_PKS4_PKT4_PKT5_llPT6_ll16rocsparse_order_21rocsparse_index_base_.uses_flat_scratch, 0
	.set _ZN9rocsparse31csrmmnn_row_split_shared_kernelILj256ELj8EfiiDF16_DF16_fEEvNS_24const_host_device_scalarIT1_EES3_bbbT3_S4_llPKT2_PKS4_PKT4_PKT5_llPT6_ll16rocsparse_order_21rocsparse_index_base_.has_dyn_sized_stack, 0
	.set _ZN9rocsparse31csrmmnn_row_split_shared_kernelILj256ELj8EfiiDF16_DF16_fEEvNS_24const_host_device_scalarIT1_EES3_bbbT3_S4_llPKT2_PKS4_PKT4_PKT5_llPT6_ll16rocsparse_order_21rocsparse_index_base_.has_recursion, 0
	.set _ZN9rocsparse31csrmmnn_row_split_shared_kernelILj256ELj8EfiiDF16_DF16_fEEvNS_24const_host_device_scalarIT1_EES3_bbbT3_S4_llPKT2_PKS4_PKT4_PKT5_llPT6_ll16rocsparse_order_21rocsparse_index_base_.has_indirect_call, 0
	.section	.AMDGPU.csdata,"",@progbits
; Kernel info:
; codeLenInByte = 1684
; TotalNumSgprs: 46
; NumVgprs: 30
; ScratchSize: 0
; MemoryBound: 0
; FloatMode: 240
; IeeeMode: 1
; LDSByteSize: 2048 bytes/workgroup (compile time only)
; SGPRBlocks: 0
; VGPRBlocks: 3
; NumSGPRsForWavesPerEU: 46
; NumVGPRsForWavesPerEU: 30
; Occupancy: 16
; WaveLimiterHint : 1
; COMPUTE_PGM_RSRC2:SCRATCH_EN: 0
; COMPUTE_PGM_RSRC2:USER_SGPR: 6
; COMPUTE_PGM_RSRC2:TRAP_HANDLER: 0
; COMPUTE_PGM_RSRC2:TGID_X_EN: 1
; COMPUTE_PGM_RSRC2:TGID_Y_EN: 1
; COMPUTE_PGM_RSRC2:TGID_Z_EN: 1
; COMPUTE_PGM_RSRC2:TIDIG_COMP_CNT: 0
	.section	.text._ZN9rocsparse31csrmmnn_row_split_shared_kernelILj256ELj8EfliDF16_DF16_fEEvNS_24const_host_device_scalarIT1_EES3_bbbT3_S4_llPKT2_PKS4_PKT4_PKT5_llPT6_ll16rocsparse_order_21rocsparse_index_base_,"axG",@progbits,_ZN9rocsparse31csrmmnn_row_split_shared_kernelILj256ELj8EfliDF16_DF16_fEEvNS_24const_host_device_scalarIT1_EES3_bbbT3_S4_llPKT2_PKS4_PKT4_PKT5_llPT6_ll16rocsparse_order_21rocsparse_index_base_,comdat
	.protected	_ZN9rocsparse31csrmmnn_row_split_shared_kernelILj256ELj8EfliDF16_DF16_fEEvNS_24const_host_device_scalarIT1_EES3_bbbT3_S4_llPKT2_PKS4_PKT4_PKT5_llPT6_ll16rocsparse_order_21rocsparse_index_base_ ; -- Begin function _ZN9rocsparse31csrmmnn_row_split_shared_kernelILj256ELj8EfliDF16_DF16_fEEvNS_24const_host_device_scalarIT1_EES3_bbbT3_S4_llPKT2_PKS4_PKT4_PKT5_llPT6_ll16rocsparse_order_21rocsparse_index_base_
	.globl	_ZN9rocsparse31csrmmnn_row_split_shared_kernelILj256ELj8EfliDF16_DF16_fEEvNS_24const_host_device_scalarIT1_EES3_bbbT3_S4_llPKT2_PKS4_PKT4_PKT5_llPT6_ll16rocsparse_order_21rocsparse_index_base_
	.p2align	8
	.type	_ZN9rocsparse31csrmmnn_row_split_shared_kernelILj256ELj8EfliDF16_DF16_fEEvNS_24const_host_device_scalarIT1_EES3_bbbT3_S4_llPKT2_PKS4_PKT4_PKT5_llPT6_ll16rocsparse_order_21rocsparse_index_base_,@function
_ZN9rocsparse31csrmmnn_row_split_shared_kernelILj256ELj8EfliDF16_DF16_fEEvNS_24const_host_device_scalarIT1_EES3_bbbT3_S4_llPKT2_PKS4_PKT4_PKT5_llPT6_ll16rocsparse_order_21rocsparse_index_base_: ; @_ZN9rocsparse31csrmmnn_row_split_shared_kernelILj256ELj8EfliDF16_DF16_fEEvNS_24const_host_device_scalarIT1_EES3_bbbT3_S4_llPKT2_PKS4_PKT4_PKT5_llPT6_ll16rocsparse_order_21rocsparse_index_base_
; %bb.0:
	s_load_dwordx8 s[36:43], s[4:5], 0x0
	s_waitcnt lgkmcnt(0)
	s_bitcmp1_b32 s40, 0
	s_cselect_b32 s0, -1, 0
	s_and_b32 vcc_lo, exec_lo, s0
	s_xor_b32 s0, s0, -1
	s_cbranch_vccnz .LBB13_2
; %bb.1:
	s_load_dword s36, s[36:37], 0x0
.LBB13_2:
	s_andn2_b32 vcc_lo, exec_lo, s0
	s_cbranch_vccnz .LBB13_4
; %bb.3:
	s_load_dword s38, s[38:39], 0x0
.LBB13_4:
	s_waitcnt lgkmcnt(0)
	v_cmp_eq_f32_e64 s0, s36, 0
	v_cmp_eq_f32_e64 s1, s38, 1.0
	s_and_b32 s0, s0, s1
	s_and_b32 vcc_lo, exec_lo, s0
	s_cbranch_vccnz .LBB13_21
; %bb.5:
	v_lshl_or_b32 v1, s6, 8, v0
	s_mov_b32 s0, exec_lo
	v_lshrrev_b32_e32 v11, 3, v1
	v_cmpx_gt_i32_e64 s41, v11
	s_cbranch_execz .LBB13_21
; %bb.6:
	s_load_dwordx16 s[12:27], s[4:5], 0x20
	s_ashr_i32 s6, s8, 31
	v_lshlrev_b32_e32 v1, 3, v11
	s_load_dwordx2 s[10:11], s[4:5], 0x78
	v_and_b32_e32 v12, 7, v0
	v_mov_b32_e32 v13, 0
	v_lshl_or_b32 v5, s7, 3, v12
	v_ashrrev_i32_e32 v6, 31, v5
	s_waitcnt lgkmcnt(0)
	s_mul_hi_u32 s0, s12, s8
	s_mul_i32 s1, s12, s6
	s_mul_i32 s2, s13, s8
	s_add_i32 s1, s0, s1
	s_mul_i32 s0, s12, s8
	s_add_i32 s1, s1, s2
	s_mov_b32 s2, exec_lo
	s_lshl_b64 s[0:1], s[0:1], 3
	s_add_u32 s0, s16, s0
	s_addc_u32 s1, s17, s1
	global_load_dwordx4 v[1:4], v1, s[0:1]
	s_waitcnt vmcnt(0)
	v_cmpx_lt_i64_e64 v[1:2], v[3:4]
	s_cbranch_execz .LBB13_14
; %bb.7:
	v_lshlrev_b32_e32 v0, 2, v0
	v_mul_lo_u32 v13, s25, v5
	v_mul_lo_u32 v16, s24, v6
	v_mad_u64_u32 v[9:10], null, s24, v5, 0
	v_and_b32_e32 v14, 0x3e0, v0
	v_lshlrev_b32_e32 v0, 2, v12
	v_sub_co_u32 v3, vcc_lo, v3, s11
	v_subrev_co_ci_u32_e64 v4, null, 0, v4, vcc_lo
	v_or_b32_e32 v15, 0x400, v14
	v_sub_co_u32 v7, vcc_lo, v1, s11
	v_add3_u32 v10, v10, v16, v13
	v_or_b32_e32 v16, v14, v0
	v_or_b32_e32 v17, v15, v0
	v_mad_u64_u32 v[0:1], null, s14, s8, v[1:2]
	s_mul_i32 s3, s15, s8
	s_mul_i32 s7, s14, s6
	;; [unrolled: 1-line block ×3, first 2 shown]
	s_mul_hi_u32 s1, s26, s8
	v_subrev_co_ci_u32_e64 v8, null, 0, v2, vcc_lo
	v_add3_u32 v1, s7, s3, v1
	s_add_i32 s0, s1, s0
	s_mul_i32 s1, s27, s8
	s_mul_i32 s12, s26, s8
	s_add_i32 s13, s0, s1
	v_add_co_u32 v2, s0, v0, v12
	v_add_co_ci_u32_e64 v18, null, 0, v1, s0
	v_lshlrev_b64 v[0:1], 1, v[9:10]
	v_sub_co_u32 v9, s0, v2, s11
	v_subrev_co_ci_u32_e64 v10, null, 0, v18, s0
	v_mov_b32_e32 v13, 0
	v_add_co_u32 v2, s0, s22, v0
	v_add_co_ci_u32_e64 v18, null, s23, v1, s0
	v_lshlrev_b64 v[0:1], 2, v[9:10]
	s_lshl_b64 s[0:1], s[12:13], 1
	v_lshlrev_b64 v[9:10], 1, v[9:10]
	v_add_co_u32 v2, s0, v2, s0
	v_add_co_ci_u32_e64 v18, null, s1, v18, s0
	v_add_co_u32 v0, s0, s18, v0
	v_add_co_ci_u32_e64 v1, null, s19, v1, s0
	;; [unrolled: 2-line block ×3, first 2 shown]
	s_mov_b32 s3, 0
	v_cmp_gt_i32_e32 vcc_lo, s42, v5
	s_branch .LBB13_9
.LBB13_8:                               ;   in Loop: Header=BB13_9 Depth=1
	s_or_b32 exec_lo, exec_lo, s1
	v_add_co_u32 v7, s0, v7, 8
	v_add_co_ci_u32_e64 v8, null, 0, v8, s0
	v_add_co_u32 v0, s0, v0, 32
	v_add_co_ci_u32_e64 v1, null, 0, v1, s0
	v_cmp_ge_i64_e64 s0, v[7:8], v[3:4]
	v_add_co_u32 v9, s1, v9, 16
	v_add_co_ci_u32_e64 v10, null, 0, v10, s1
	s_or_b32 s3, s0, s3
	s_andn2_b32 exec_lo, exec_lo, s3
	s_cbranch_execz .LBB13_13
.LBB13_9:                               ; =>This Inner Loop Header: Depth=1
	v_add_co_u32 v19, s0, v12, v7
	v_add_co_ci_u32_e64 v20, null, 0, v8, s0
	s_barrier
	buffer_gl0_inv
	v_cmp_lt_i64_e64 s0, v[19:20], v[3:4]
	v_mov_b32_e32 v19, 0
	v_mov_b32_e32 v20, 0
	s_and_saveexec_b32 s1, s0
	s_cbranch_execz .LBB13_11
; %bb.10:                               ;   in Loop: Header=BB13_9 Depth=1
	global_load_dword v19, v[0:1], off
	global_load_ushort v20, v[9:10], off
	s_waitcnt vmcnt(1)
	v_subrev_nc_u32_e32 v19, s11, v19
	s_waitcnt vmcnt(0)
	v_cvt_f32_f16_e32 v20, v20
.LBB13_11:                              ;   in Loop: Header=BB13_9 Depth=1
	s_or_b32 exec_lo, exec_lo, s1
	ds_write_b32 v16, v19
	ds_write_b32 v17, v20
	s_waitcnt lgkmcnt(0)
	s_barrier
	buffer_gl0_inv
	s_and_saveexec_b32 s1, vcc_lo
	s_cbranch_execz .LBB13_8
; %bb.12:                               ;   in Loop: Header=BB13_9 Depth=1
	ds_read_b128 v[19:22], v14
	ds_read_b128 v[23:26], v14 offset:16
	s_waitcnt lgkmcnt(1)
	v_ashrrev_i32_e32 v28, 31, v19
	v_mov_b32_e32 v27, v19
	v_ashrrev_i32_e32 v30, 31, v20
	v_mov_b32_e32 v29, v20
	;; [unrolled: 2-line block ×3, first 2 shown]
	v_lshlrev_b64 v[27:28], 1, v[27:28]
	v_ashrrev_i32_e32 v32, 31, v22
	v_mov_b32_e32 v31, v22
	v_lshlrev_b64 v[29:30], 1, v[29:30]
	v_lshlrev_b64 v[19:20], 1, v[19:20]
	s_waitcnt lgkmcnt(0)
	v_ashrrev_i32_e32 v22, 31, v23
	v_add_co_u32 v27, s0, v2, v27
	v_lshlrev_b64 v[31:32], 1, v[31:32]
	v_add_co_ci_u32_e64 v28, null, v18, v28, s0
	v_add_co_u32 v29, s0, v2, v29
	v_add_co_ci_u32_e64 v30, null, v18, v30, s0
	v_add_co_u32 v19, s0, v2, v19
	;; [unrolled: 2-line block ×3, first 2 shown]
	v_mov_b32_e32 v21, v23
	v_add_co_ci_u32_e64 v32, null, v18, v32, s0
	v_ashrrev_i32_e32 v34, 31, v24
	v_mov_b32_e32 v33, v24
	s_clause 0x3
	global_load_ushort v28, v[27:28], off
	global_load_ushort v29, v[29:30], off
	;; [unrolled: 1-line block ×4, first 2 shown]
	v_lshlrev_b64 v[21:22], 1, v[21:22]
	v_ashrrev_i32_e32 v24, 31, v25
	v_mov_b32_e32 v23, v25
	v_lshlrev_b64 v[19:20], 1, v[33:34]
	v_ashrrev_i32_e32 v27, 31, v26
	v_add_co_u32 v21, s0, v2, v21
	v_add_co_ci_u32_e64 v22, null, v18, v22, s0
	v_add_co_u32 v19, s0, v2, v19
	v_add_co_ci_u32_e64 v20, null, v18, v20, s0
	v_lshlrev_b64 v[23:24], 1, v[23:24]
	s_clause 0x1
	global_load_ushort v32, v[21:22], off
	global_load_ushort v33, v[19:20], off
	v_lshlrev_b64 v[19:20], 1, v[26:27]
	v_add_co_u32 v21, s0, v2, v23
	v_add_co_ci_u32_e64 v22, null, v18, v24, s0
	v_add_co_u32 v19, s0, v2, v19
	v_add_co_ci_u32_e64 v20, null, v18, v20, s0
	s_clause 0x1
	global_load_ushort v27, v[21:22], off
	global_load_ushort v34, v[19:20], off
	ds_read_b128 v[19:22], v15
	ds_read_b128 v[23:26], v15 offset:16
	s_waitcnt vmcnt(7) lgkmcnt(1)
	v_fma_mix_f32 v13, v19, v28, v13 op_sel_hi:[0,1,0]
	s_waitcnt vmcnt(6)
	v_fma_mix_f32 v13, v20, v29, v13 op_sel_hi:[0,1,0]
	s_waitcnt vmcnt(5)
	;; [unrolled: 2-line block ×3, first 2 shown]
	v_fma_mix_f32 v13, v22, v31, v13 op_sel_hi:[0,1,0]
	s_waitcnt vmcnt(3) lgkmcnt(0)
	v_fma_mix_f32 v13, v23, v32, v13 op_sel_hi:[0,1,0]
	s_waitcnt vmcnt(2)
	v_fma_mix_f32 v13, v24, v33, v13 op_sel_hi:[0,1,0]
	s_waitcnt vmcnt(1)
	;; [unrolled: 2-line block ×3, first 2 shown]
	v_fma_mix_f32 v13, v26, v34, v13 op_sel_hi:[0,1,0]
	s_branch .LBB13_8
.LBB13_13:
	s_or_b32 exec_lo, exec_lo, s3
.LBB13_14:
	s_or_b32 exec_lo, exec_lo, s2
	v_cmp_gt_i32_e32 vcc_lo, s42, v5
	s_and_b32 exec_lo, exec_lo, vcc_lo
	s_cbranch_execz .LBB13_21
; %bb.15:
	s_clause 0x1
	s_load_dwordx2 s[12:13], s[4:5], 0x70
	s_load_dwordx4 s[0:3], s[4:5], 0x60
	v_cmp_neq_f32_e64 s4, s38, 0
	v_mul_f32_e32 v0, s36, v13
	s_cmp_lg_u32 s10, 1
	s_cselect_b32 s7, -1, 0
	s_and_b32 vcc_lo, exec_lo, s4
	s_waitcnt lgkmcnt(0)
	s_mul_i32 s9, s12, s6
	s_mul_hi_u32 s10, s12, s8
	s_mul_i32 s6, s13, s8
	s_mul_i32 s4, s12, s8
	s_cbranch_vccz .LBB13_22
; %bb.16:
	s_add_i32 s5, s10, s9
	s_and_b32 vcc_lo, exec_lo, s7
	s_add_i32 s5, s5, s6
	s_mov_b32 s8, -1
	s_cbranch_vccz .LBB13_18
; %bb.17:
	v_mad_u64_u32 v[1:2], null, s2, v11, 0
	s_lshl_b64 s[12:13], s[4:5], 2
	s_mov_b32 s8, 0
	v_mad_u64_u32 v[2:3], null, s3, v11, v[2:3]
	v_lshlrev_b64 v[3:4], 2, v[5:6]
	v_lshlrev_b64 v[1:2], 2, v[1:2]
	v_add_co_u32 v1, vcc_lo, s0, v1
	v_add_co_ci_u32_e64 v2, null, s1, v2, vcc_lo
	v_add_co_u32 v1, vcc_lo, v1, v3
	v_add_co_ci_u32_e64 v2, null, v2, v4, vcc_lo
	;; [unrolled: 2-line block ×3, first 2 shown]
	global_load_dword v3, v[1:2], off
	s_waitcnt vmcnt(0)
	v_fma_f32 v3, s38, v3, v0
	global_store_dword v[1:2], v3, off
.LBB13_18:
	s_andn2_b32 vcc_lo, exec_lo, s8
	s_cbranch_vccnz .LBB13_20
; %bb.19:
	v_mul_lo_u32 v3, s3, v5
	v_mul_lo_u32 v4, s2, v6
	v_mad_u64_u32 v[1:2], null, s2, v5, 0
	s_lshl_b64 s[12:13], s[4:5], 2
	v_add3_u32 v2, v2, v4, v3
	v_lshlrev_b32_e32 v3, 2, v11
	v_lshlrev_b64 v[1:2], 2, v[1:2]
	v_add_co_u32 v1, vcc_lo, s0, v1
	v_add_co_ci_u32_e64 v2, null, s1, v2, vcc_lo
	v_add_co_u32 v1, vcc_lo, v1, v3
	v_add_co_ci_u32_e64 v2, null, 0, v2, vcc_lo
	;; [unrolled: 2-line block ×3, first 2 shown]
	global_load_dword v3, v[1:2], off
	s_waitcnt vmcnt(0)
	v_fma_f32 v3, s38, v3, v0
	global_store_dword v[1:2], v3, off
.LBB13_20:
	s_cbranch_execz .LBB13_23
.LBB13_21:
	s_endpgm
.LBB13_22:
.LBB13_23:
	s_add_i32 s5, s10, s9
	s_and_b32 vcc_lo, exec_lo, s7
	s_add_i32 s5, s5, s6
	s_mov_b32 s6, -1
	s_cbranch_vccz .LBB13_25
; %bb.24:
	v_mad_u64_u32 v[1:2], null, s2, v11, 0
	s_lshl_b64 s[6:7], s[4:5], 2
	v_mad_u64_u32 v[2:3], null, s3, v11, v[2:3]
	v_lshlrev_b64 v[3:4], 2, v[5:6]
	v_lshlrev_b64 v[1:2], 2, v[1:2]
	v_add_co_u32 v1, vcc_lo, s0, v1
	v_add_co_ci_u32_e64 v2, null, s1, v2, vcc_lo
	v_add_co_u32 v1, vcc_lo, v1, v3
	v_add_co_ci_u32_e64 v2, null, v2, v4, vcc_lo
	;; [unrolled: 2-line block ×3, first 2 shown]
	s_mov_b32 s6, 0
	global_store_dword v[1:2], v0, off
.LBB13_25:
	s_andn2_b32 vcc_lo, exec_lo, s6
	s_cbranch_vccnz .LBB13_21
; %bb.26:
	v_mul_lo_u32 v3, s3, v5
	v_mul_lo_u32 v4, s2, v6
	v_mad_u64_u32 v[1:2], null, s2, v5, 0
	v_add3_u32 v2, v2, v4, v3
	v_lshlrev_b32_e32 v3, 2, v11
	v_lshlrev_b64 v[1:2], 2, v[1:2]
	v_add_co_u32 v1, vcc_lo, s0, v1
	v_add_co_ci_u32_e64 v2, null, s1, v2, vcc_lo
	s_lshl_b64 s[0:1], s[4:5], 2
	v_add_co_u32 v1, vcc_lo, v1, v3
	v_add_co_ci_u32_e64 v2, null, 0, v2, vcc_lo
	v_add_co_u32 v1, vcc_lo, v1, s0
	v_add_co_ci_u32_e64 v2, null, s1, v2, vcc_lo
	global_store_dword v[1:2], v0, off
	s_endpgm
	.section	.rodata,"a",@progbits
	.p2align	6, 0x0
	.amdhsa_kernel _ZN9rocsparse31csrmmnn_row_split_shared_kernelILj256ELj8EfliDF16_DF16_fEEvNS_24const_host_device_scalarIT1_EES3_bbbT3_S4_llPKT2_PKS4_PKT4_PKT5_llPT6_ll16rocsparse_order_21rocsparse_index_base_
		.amdhsa_group_segment_fixed_size 2048
		.amdhsa_private_segment_fixed_size 0
		.amdhsa_kernarg_size 128
		.amdhsa_user_sgpr_count 6
		.amdhsa_user_sgpr_private_segment_buffer 1
		.amdhsa_user_sgpr_dispatch_ptr 0
		.amdhsa_user_sgpr_queue_ptr 0
		.amdhsa_user_sgpr_kernarg_segment_ptr 1
		.amdhsa_user_sgpr_dispatch_id 0
		.amdhsa_user_sgpr_flat_scratch_init 0
		.amdhsa_user_sgpr_private_segment_size 0
		.amdhsa_wavefront_size32 1
		.amdhsa_uses_dynamic_stack 0
		.amdhsa_system_sgpr_private_segment_wavefront_offset 0
		.amdhsa_system_sgpr_workgroup_id_x 1
		.amdhsa_system_sgpr_workgroup_id_y 1
		.amdhsa_system_sgpr_workgroup_id_z 1
		.amdhsa_system_sgpr_workgroup_info 0
		.amdhsa_system_vgpr_workitem_id 0
		.amdhsa_next_free_vgpr 35
		.amdhsa_next_free_sgpr 44
		.amdhsa_reserve_vcc 1
		.amdhsa_reserve_flat_scratch 0
		.amdhsa_float_round_mode_32 0
		.amdhsa_float_round_mode_16_64 0
		.amdhsa_float_denorm_mode_32 3
		.amdhsa_float_denorm_mode_16_64 3
		.amdhsa_dx10_clamp 1
		.amdhsa_ieee_mode 1
		.amdhsa_fp16_overflow 0
		.amdhsa_workgroup_processor_mode 1
		.amdhsa_memory_ordered 1
		.amdhsa_forward_progress 1
		.amdhsa_shared_vgpr_count 0
		.amdhsa_exception_fp_ieee_invalid_op 0
		.amdhsa_exception_fp_denorm_src 0
		.amdhsa_exception_fp_ieee_div_zero 0
		.amdhsa_exception_fp_ieee_overflow 0
		.amdhsa_exception_fp_ieee_underflow 0
		.amdhsa_exception_fp_ieee_inexact 0
		.amdhsa_exception_int_div_zero 0
	.end_amdhsa_kernel
	.section	.text._ZN9rocsparse31csrmmnn_row_split_shared_kernelILj256ELj8EfliDF16_DF16_fEEvNS_24const_host_device_scalarIT1_EES3_bbbT3_S4_llPKT2_PKS4_PKT4_PKT5_llPT6_ll16rocsparse_order_21rocsparse_index_base_,"axG",@progbits,_ZN9rocsparse31csrmmnn_row_split_shared_kernelILj256ELj8EfliDF16_DF16_fEEvNS_24const_host_device_scalarIT1_EES3_bbbT3_S4_llPKT2_PKS4_PKT4_PKT5_llPT6_ll16rocsparse_order_21rocsparse_index_base_,comdat
.Lfunc_end13:
	.size	_ZN9rocsparse31csrmmnn_row_split_shared_kernelILj256ELj8EfliDF16_DF16_fEEvNS_24const_host_device_scalarIT1_EES3_bbbT3_S4_llPKT2_PKS4_PKT4_PKT5_llPT6_ll16rocsparse_order_21rocsparse_index_base_, .Lfunc_end13-_ZN9rocsparse31csrmmnn_row_split_shared_kernelILj256ELj8EfliDF16_DF16_fEEvNS_24const_host_device_scalarIT1_EES3_bbbT3_S4_llPKT2_PKS4_PKT4_PKT5_llPT6_ll16rocsparse_order_21rocsparse_index_base_
                                        ; -- End function
	.set _ZN9rocsparse31csrmmnn_row_split_shared_kernelILj256ELj8EfliDF16_DF16_fEEvNS_24const_host_device_scalarIT1_EES3_bbbT3_S4_llPKT2_PKS4_PKT4_PKT5_llPT6_ll16rocsparse_order_21rocsparse_index_base_.num_vgpr, 35
	.set _ZN9rocsparse31csrmmnn_row_split_shared_kernelILj256ELj8EfliDF16_DF16_fEEvNS_24const_host_device_scalarIT1_EES3_bbbT3_S4_llPKT2_PKS4_PKT4_PKT5_llPT6_ll16rocsparse_order_21rocsparse_index_base_.num_agpr, 0
	.set _ZN9rocsparse31csrmmnn_row_split_shared_kernelILj256ELj8EfliDF16_DF16_fEEvNS_24const_host_device_scalarIT1_EES3_bbbT3_S4_llPKT2_PKS4_PKT4_PKT5_llPT6_ll16rocsparse_order_21rocsparse_index_base_.numbered_sgpr, 44
	.set _ZN9rocsparse31csrmmnn_row_split_shared_kernelILj256ELj8EfliDF16_DF16_fEEvNS_24const_host_device_scalarIT1_EES3_bbbT3_S4_llPKT2_PKS4_PKT4_PKT5_llPT6_ll16rocsparse_order_21rocsparse_index_base_.num_named_barrier, 0
	.set _ZN9rocsparse31csrmmnn_row_split_shared_kernelILj256ELj8EfliDF16_DF16_fEEvNS_24const_host_device_scalarIT1_EES3_bbbT3_S4_llPKT2_PKS4_PKT4_PKT5_llPT6_ll16rocsparse_order_21rocsparse_index_base_.private_seg_size, 0
	.set _ZN9rocsparse31csrmmnn_row_split_shared_kernelILj256ELj8EfliDF16_DF16_fEEvNS_24const_host_device_scalarIT1_EES3_bbbT3_S4_llPKT2_PKS4_PKT4_PKT5_llPT6_ll16rocsparse_order_21rocsparse_index_base_.uses_vcc, 1
	.set _ZN9rocsparse31csrmmnn_row_split_shared_kernelILj256ELj8EfliDF16_DF16_fEEvNS_24const_host_device_scalarIT1_EES3_bbbT3_S4_llPKT2_PKS4_PKT4_PKT5_llPT6_ll16rocsparse_order_21rocsparse_index_base_.uses_flat_scratch, 0
	.set _ZN9rocsparse31csrmmnn_row_split_shared_kernelILj256ELj8EfliDF16_DF16_fEEvNS_24const_host_device_scalarIT1_EES3_bbbT3_S4_llPKT2_PKS4_PKT4_PKT5_llPT6_ll16rocsparse_order_21rocsparse_index_base_.has_dyn_sized_stack, 0
	.set _ZN9rocsparse31csrmmnn_row_split_shared_kernelILj256ELj8EfliDF16_DF16_fEEvNS_24const_host_device_scalarIT1_EES3_bbbT3_S4_llPKT2_PKS4_PKT4_PKT5_llPT6_ll16rocsparse_order_21rocsparse_index_base_.has_recursion, 0
	.set _ZN9rocsparse31csrmmnn_row_split_shared_kernelILj256ELj8EfliDF16_DF16_fEEvNS_24const_host_device_scalarIT1_EES3_bbbT3_S4_llPKT2_PKS4_PKT4_PKT5_llPT6_ll16rocsparse_order_21rocsparse_index_base_.has_indirect_call, 0
	.section	.AMDGPU.csdata,"",@progbits
; Kernel info:
; codeLenInByte = 1776
; TotalNumSgprs: 46
; NumVgprs: 35
; ScratchSize: 0
; MemoryBound: 0
; FloatMode: 240
; IeeeMode: 1
; LDSByteSize: 2048 bytes/workgroup (compile time only)
; SGPRBlocks: 0
; VGPRBlocks: 4
; NumSGPRsForWavesPerEU: 46
; NumVGPRsForWavesPerEU: 35
; Occupancy: 16
; WaveLimiterHint : 1
; COMPUTE_PGM_RSRC2:SCRATCH_EN: 0
; COMPUTE_PGM_RSRC2:USER_SGPR: 6
; COMPUTE_PGM_RSRC2:TRAP_HANDLER: 0
; COMPUTE_PGM_RSRC2:TGID_X_EN: 1
; COMPUTE_PGM_RSRC2:TGID_Y_EN: 1
; COMPUTE_PGM_RSRC2:TGID_Z_EN: 1
; COMPUTE_PGM_RSRC2:TIDIG_COMP_CNT: 0
	.section	.text._ZN9rocsparse31csrmmnn_row_split_shared_kernelILj256ELj8EfllDF16_DF16_fEEvNS_24const_host_device_scalarIT1_EES3_bbbT3_S4_llPKT2_PKS4_PKT4_PKT5_llPT6_ll16rocsparse_order_21rocsparse_index_base_,"axG",@progbits,_ZN9rocsparse31csrmmnn_row_split_shared_kernelILj256ELj8EfllDF16_DF16_fEEvNS_24const_host_device_scalarIT1_EES3_bbbT3_S4_llPKT2_PKS4_PKT4_PKT5_llPT6_ll16rocsparse_order_21rocsparse_index_base_,comdat
	.protected	_ZN9rocsparse31csrmmnn_row_split_shared_kernelILj256ELj8EfllDF16_DF16_fEEvNS_24const_host_device_scalarIT1_EES3_bbbT3_S4_llPKT2_PKS4_PKT4_PKT5_llPT6_ll16rocsparse_order_21rocsparse_index_base_ ; -- Begin function _ZN9rocsparse31csrmmnn_row_split_shared_kernelILj256ELj8EfllDF16_DF16_fEEvNS_24const_host_device_scalarIT1_EES3_bbbT3_S4_llPKT2_PKS4_PKT4_PKT5_llPT6_ll16rocsparse_order_21rocsparse_index_base_
	.globl	_ZN9rocsparse31csrmmnn_row_split_shared_kernelILj256ELj8EfllDF16_DF16_fEEvNS_24const_host_device_scalarIT1_EES3_bbbT3_S4_llPKT2_PKS4_PKT4_PKT5_llPT6_ll16rocsparse_order_21rocsparse_index_base_
	.p2align	8
	.type	_ZN9rocsparse31csrmmnn_row_split_shared_kernelILj256ELj8EfllDF16_DF16_fEEvNS_24const_host_device_scalarIT1_EES3_bbbT3_S4_llPKT2_PKS4_PKT4_PKT5_llPT6_ll16rocsparse_order_21rocsparse_index_base_,@function
_ZN9rocsparse31csrmmnn_row_split_shared_kernelILj256ELj8EfllDF16_DF16_fEEvNS_24const_host_device_scalarIT1_EES3_bbbT3_S4_llPKT2_PKS4_PKT4_PKT5_llPT6_ll16rocsparse_order_21rocsparse_index_base_: ; @_ZN9rocsparse31csrmmnn_row_split_shared_kernelILj256ELj8EfllDF16_DF16_fEEvNS_24const_host_device_scalarIT1_EES3_bbbT3_S4_llPKT2_PKS4_PKT4_PKT5_llPT6_ll16rocsparse_order_21rocsparse_index_base_
; %bb.0:
	s_clause 0x1
	s_load_dword s0, s[4:5], 0x10
	s_load_dwordx4 s[28:31], s[4:5], 0x0
	s_waitcnt lgkmcnt(0)
	s_bitcmp1_b32 s0, 0
	s_cselect_b32 s0, -1, 0
	s_and_b32 vcc_lo, exec_lo, s0
	s_xor_b32 s0, s0, -1
	s_cbranch_vccnz .LBB14_2
; %bb.1:
	s_load_dword s28, s[28:29], 0x0
.LBB14_2:
	s_andn2_b32 vcc_lo, exec_lo, s0
	s_cbranch_vccnz .LBB14_4
; %bb.3:
	s_load_dword s30, s[30:31], 0x0
.LBB14_4:
	s_waitcnt lgkmcnt(0)
	v_cmp_eq_f32_e64 s0, s28, 0
	v_cmp_eq_f32_e64 s1, s30, 1.0
	s_and_b32 s0, s0, s1
	s_and_b32 vcc_lo, exec_lo, s0
	s_cbranch_vccnz .LBB14_21
; %bb.5:
	s_load_dwordx16 s[12:27], s[4:5], 0x18
	v_lshl_or_b32 v1, s6, 8, v0
	v_mov_b32_e32 v6, 0
	s_mov_b32 s0, exec_lo
	v_lshrrev_b32_e32 v5, 3, v1
	s_waitcnt lgkmcnt(0)
	v_cmpx_gt_i64_e64 s[12:13], v[5:6]
	s_cbranch_execz .LBB14_21
; %bb.6:
	s_mul_i32 s1, s17, s8
	s_mul_hi_u32 s2, s16, s8
	s_mul_i32 s0, s16, s8
	s_add_i32 s1, s2, s1
	v_lshlrev_b32_e32 v1, 3, v5
	s_lshl_b64 s[0:1], s[0:1], 3
	v_and_b32_e32 v15, 7, v0
	s_add_u32 s0, s20, s0
	s_addc_u32 s1, s21, s1
	v_mov_b32_e32 v8, v6
	global_load_dwordx4 v[1:4], v1, s[0:1]
	s_clause 0x1
	s_load_dwordx8 s[36:43], s[4:5], 0x58
	s_load_dwordx4 s[44:47], s[4:5], 0x78
	v_lshl_or_b32 v7, s7, 3, v15
	s_mov_b32 s3, 0
	s_mov_b32 s2, exec_lo
	s_waitcnt vmcnt(0)
	v_cmpx_lt_i64_e64 v[1:2], v[3:4]
	s_cbranch_execz .LBB14_14
; %bb.7:
	s_waitcnt lgkmcnt(0)
	v_mad_u64_u32 v[9:10], null, s36, v7, 0
	v_lshrrev_b32_e32 v6, 3, v0
	v_mad_u64_u32 v[11:12], null, s18, s8, v[1:2]
	s_mul_i32 s0, s39, s8
	s_mul_hi_u32 s1, s38, s8
	s_mul_i32 s4, s38, s8
	v_mov_b32_e32 v0, v10
	s_add_i32 s5, s1, s0
	v_sub_co_u32 v3, vcc_lo, v3, s47
	v_add_co_u32 v11, s0, v11, v15
	v_mad_u64_u32 v[13:14], null, s37, v7, v[0:1]
	v_subrev_co_ci_u32_e64 v4, null, 0, v4, vcc_lo
	v_sub_co_u32 v0, vcc_lo, v1, s47
	v_lshlrev_b32_e32 v16, 6, v6
	v_subrev_co_ci_u32_e64 v1, null, 0, v2, vcc_lo
	v_mov_b32_e32 v10, v13
	v_mad_u64_u32 v[12:13], null, s19, s8, v[12:13]
	v_lshl_or_b32 v2, v6, 5, 0x800
	v_mov_b32_e32 v6, 0
	v_lshlrev_b64 v[9:10], 1, v[9:10]
	v_lshl_or_b32 v17, v15, 3, v16
	v_cmp_gt_i64_e32 vcc_lo, s[14:15], v[7:8]
	v_lshl_or_b32 v18, v15, 2, v2
	v_add_co_ci_u32_e64 v12, null, 0, v12, s0
	v_sub_co_u32 v11, s0, v11, s47
	v_subrev_co_ci_u32_e64 v12, null, 0, v12, s0
	v_add_co_u32 v13, s0, s26, v9
	v_add_co_ci_u32_e64 v14, null, s27, v10, s0
	v_lshlrev_b64 v[9:10], 3, v[11:12]
	s_lshl_b64 s[0:1], s[4:5], 1
	v_lshlrev_b64 v[11:12], 1, v[11:12]
	v_add_co_u32 v19, s0, v13, s0
	v_add_co_ci_u32_e64 v20, null, s1, v14, s0
	v_add_co_u32 v9, s0, s22, v9
	v_add_co_ci_u32_e64 v10, null, s23, v10, s0
	;; [unrolled: 2-line block ×3, first 2 shown]
	s_mov_b32 s4, s47
	s_branch .LBB14_9
.LBB14_8:                               ;   in Loop: Header=BB14_9 Depth=1
	s_or_b32 exec_lo, exec_lo, s1
	v_add_co_u32 v0, s0, v0, 8
	v_add_co_ci_u32_e64 v1, null, 0, v1, s0
	v_add_co_u32 v9, s0, v9, 64
	v_add_co_ci_u32_e64 v10, null, 0, v10, s0
	v_cmp_ge_i64_e64 s0, v[0:1], v[3:4]
	v_add_co_u32 v11, s1, v11, 16
	v_add_co_ci_u32_e64 v12, null, 0, v12, s1
	s_or_b32 s3, s0, s3
	s_andn2_b32 exec_lo, exec_lo, s3
	s_cbranch_execz .LBB14_13
.LBB14_9:                               ; =>This Inner Loop Header: Depth=1
	v_add_co_u32 v13, s0, v15, v0
	v_add_co_ci_u32_e64 v14, null, 0, v1, s0
	v_mov_b32_e32 v21, 0
	s_barrier
	v_cmp_lt_i64_e64 s0, v[13:14], v[3:4]
	v_mov_b32_e32 v13, 0
	v_mov_b32_e32 v14, 0
	buffer_gl0_inv
	s_and_saveexec_b32 s1, s0
	s_cbranch_execz .LBB14_11
; %bb.10:                               ;   in Loop: Header=BB14_9 Depth=1
	global_load_dwordx2 v[13:14], v[9:10], off
	global_load_ushort v21, v[11:12], off
	s_waitcnt vmcnt(1)
	v_sub_co_u32 v13, s0, v13, s4
	v_subrev_co_ci_u32_e64 v14, null, 0, v14, s0
	s_waitcnt vmcnt(0)
	v_cvt_f32_f16_e32 v21, v21
.LBB14_11:                              ;   in Loop: Header=BB14_9 Depth=1
	s_or_b32 exec_lo, exec_lo, s1
	ds_write_b64 v17, v[13:14]
	ds_write_b32 v18, v21
	s_waitcnt lgkmcnt(0)
	s_barrier
	buffer_gl0_inv
	s_and_saveexec_b32 s1, vcc_lo
	s_cbranch_execz .LBB14_8
; %bb.12:                               ;   in Loop: Header=BB14_9 Depth=1
	ds_read_b128 v[21:24], v16
	ds_read_b128 v[25:28], v16 offset:16
	ds_read_b128 v[29:32], v16 offset:32
	;; [unrolled: 1-line block ×3, first 2 shown]
	s_waitcnt lgkmcnt(3)
	v_lshlrev_b64 v[13:14], 1, v[21:22]
	v_lshlrev_b64 v[21:22], 1, v[23:24]
	s_waitcnt lgkmcnt(2)
	v_lshlrev_b64 v[23:24], 1, v[25:26]
	v_lshlrev_b64 v[25:26], 1, v[27:28]
	v_add_co_u32 v13, s0, v19, v13
	v_add_co_ci_u32_e64 v14, null, v20, v14, s0
	v_add_co_u32 v21, s0, v19, v21
	v_add_co_ci_u32_e64 v22, null, v20, v22, s0
	v_add_co_u32 v23, s0, v19, v23
	global_load_ushort v37, v[13:14], off
	v_add_co_ci_u32_e64 v24, null, v20, v24, s0
	v_add_co_u32 v13, s0, v19, v25
	v_add_co_ci_u32_e64 v14, null, v20, v26, s0
	s_waitcnt lgkmcnt(1)
	v_lshlrev_b64 v[25:26], 1, v[29:30]
	s_clause 0x2
	global_load_ushort v29, v[21:22], off
	global_load_ushort v30, v[23:24], off
	;; [unrolled: 1-line block ×3, first 2 shown]
	v_lshlrev_b64 v[13:14], 1, v[31:32]
	s_waitcnt lgkmcnt(0)
	v_lshlrev_b64 v[23:24], 1, v[33:34]
	v_add_co_u32 v21, s0, v19, v25
	v_add_co_ci_u32_e64 v22, null, v20, v26, s0
	v_add_co_u32 v13, s0, v19, v13
	v_add_co_ci_u32_e64 v14, null, v20, v14, s0
	s_clause 0x1
	global_load_ushort v31, v[21:22], off
	global_load_ushort v32, v[13:14], off
	v_lshlrev_b64 v[13:14], 1, v[35:36]
	v_add_co_u32 v21, s0, v19, v23
	v_add_co_ci_u32_e64 v22, null, v20, v24, s0
	v_add_co_u32 v13, s0, v19, v13
	v_add_co_ci_u32_e64 v14, null, v20, v14, s0
	s_clause 0x1
	global_load_ushort v33, v[21:22], off
	global_load_ushort v13, v[13:14], off
	ds_read_b128 v[21:24], v2
	ds_read_b128 v[25:28], v2 offset:16
	s_waitcnt vmcnt(7) lgkmcnt(1)
	v_fma_mix_f32 v6, v21, v37, v6 op_sel_hi:[0,1,0]
	s_waitcnt vmcnt(6)
	v_fma_mix_f32 v6, v22, v29, v6 op_sel_hi:[0,1,0]
	s_waitcnt vmcnt(5)
	;; [unrolled: 2-line block ×3, first 2 shown]
	v_fma_mix_f32 v6, v24, v38, v6 op_sel_hi:[0,1,0]
	s_waitcnt vmcnt(3) lgkmcnt(0)
	v_fma_mix_f32 v6, v25, v31, v6 op_sel_hi:[0,1,0]
	s_waitcnt vmcnt(2)
	v_fma_mix_f32 v6, v26, v32, v6 op_sel_hi:[0,1,0]
	s_waitcnt vmcnt(1)
	;; [unrolled: 2-line block ×3, first 2 shown]
	v_fma_mix_f32 v6, v28, v13, v6 op_sel_hi:[0,1,0]
	s_branch .LBB14_8
.LBB14_13:
	s_or_b32 exec_lo, exec_lo, s3
.LBB14_14:
	s_or_b32 exec_lo, exec_lo, s2
	v_cmp_gt_i64_e32 vcc_lo, s[14:15], v[7:8]
	s_and_b32 exec_lo, exec_lo, vcc_lo
	s_cbranch_execz .LBB14_21
; %bb.15:
	v_cmp_neq_f32_e64 s0, s30, 0
	v_mul_f32_e32 v0, s28, v6
	s_waitcnt lgkmcnt(0)
	s_cmp_lg_u32 s46, 1
	s_mul_i32 s3, s45, s8
	s_cselect_b32 s2, -1, 0
	s_and_b32 vcc_lo, exec_lo, s0
	s_mul_hi_u32 s4, s44, s8
	s_mul_i32 s0, s44, s8
	s_cbranch_vccz .LBB14_22
; %bb.16:
	s_add_i32 s1, s4, s3
	s_and_b32 vcc_lo, exec_lo, s2
	s_mov_b32 s5, -1
	s_cbranch_vccz .LBB14_18
; %bb.17:
	v_mad_u64_u32 v[1:2], null, s42, v5, 0
	s_lshl_b64 s[6:7], s[0:1], 2
	s_mov_b32 s5, 0
	v_mad_u64_u32 v[2:3], null, s43, v5, v[2:3]
	v_lshlrev_b64 v[3:4], 2, v[7:8]
	v_lshlrev_b64 v[1:2], 2, v[1:2]
	v_add_co_u32 v1, vcc_lo, s40, v1
	v_add_co_ci_u32_e64 v2, null, s41, v2, vcc_lo
	v_add_co_u32 v1, vcc_lo, v1, v3
	v_add_co_ci_u32_e64 v2, null, v2, v4, vcc_lo
	;; [unrolled: 2-line block ×3, first 2 shown]
	global_load_dword v3, v[1:2], off
	s_waitcnt vmcnt(0)
	v_fma_f32 v3, s30, v3, v0
	global_store_dword v[1:2], v3, off
.LBB14_18:
	s_andn2_b32 vcc_lo, exec_lo, s5
	s_cbranch_vccnz .LBB14_20
; %bb.19:
	v_mad_u64_u32 v[1:2], null, s42, v7, 0
	s_lshl_b64 s[6:7], s[0:1], 2
	v_mad_u64_u32 v[2:3], null, s43, v7, v[2:3]
	v_lshlrev_b32_e32 v3, 2, v5
	v_lshlrev_b64 v[1:2], 2, v[1:2]
	v_add_co_u32 v1, vcc_lo, s40, v1
	v_add_co_ci_u32_e64 v2, null, s41, v2, vcc_lo
	v_add_co_u32 v1, vcc_lo, v1, v3
	v_add_co_ci_u32_e64 v2, null, 0, v2, vcc_lo
	;; [unrolled: 2-line block ×3, first 2 shown]
	global_load_dword v3, v[1:2], off
	s_waitcnt vmcnt(0)
	v_fma_f32 v3, s30, v3, v0
	global_store_dword v[1:2], v3, off
.LBB14_20:
	s_cbranch_execz .LBB14_23
.LBB14_21:
	s_endpgm
.LBB14_22:
.LBB14_23:
	s_add_i32 s1, s4, s3
	s_and_b32 vcc_lo, exec_lo, s2
	s_mov_b32 s2, -1
	s_cbranch_vccz .LBB14_25
; %bb.24:
	v_mad_u64_u32 v[1:2], null, s42, v5, 0
	s_lshl_b64 s[2:3], s[0:1], 2
	v_mad_u64_u32 v[2:3], null, s43, v5, v[2:3]
	v_lshlrev_b64 v[3:4], 2, v[7:8]
	v_lshlrev_b64 v[1:2], 2, v[1:2]
	v_add_co_u32 v1, vcc_lo, s40, v1
	v_add_co_ci_u32_e64 v2, null, s41, v2, vcc_lo
	v_add_co_u32 v1, vcc_lo, v1, v3
	v_add_co_ci_u32_e64 v2, null, v2, v4, vcc_lo
	;; [unrolled: 2-line block ×3, first 2 shown]
	s_mov_b32 s2, 0
	global_store_dword v[1:2], v0, off
.LBB14_25:
	s_andn2_b32 vcc_lo, exec_lo, s2
	s_cbranch_vccnz .LBB14_21
; %bb.26:
	v_mad_u64_u32 v[1:2], null, s42, v7, 0
	s_lshl_b64 s[0:1], s[0:1], 2
	v_mad_u64_u32 v[2:3], null, s43, v7, v[2:3]
	v_lshlrev_b32_e32 v3, 2, v5
	v_lshlrev_b64 v[1:2], 2, v[1:2]
	v_add_co_u32 v1, vcc_lo, s40, v1
	v_add_co_ci_u32_e64 v2, null, s41, v2, vcc_lo
	v_add_co_u32 v1, vcc_lo, v1, v3
	v_add_co_ci_u32_e64 v2, null, 0, v2, vcc_lo
	;; [unrolled: 2-line block ×3, first 2 shown]
	global_store_dword v[1:2], v0, off
	s_endpgm
	.section	.rodata,"a",@progbits
	.p2align	6, 0x0
	.amdhsa_kernel _ZN9rocsparse31csrmmnn_row_split_shared_kernelILj256ELj8EfllDF16_DF16_fEEvNS_24const_host_device_scalarIT1_EES3_bbbT3_S4_llPKT2_PKS4_PKT4_PKT5_llPT6_ll16rocsparse_order_21rocsparse_index_base_
		.amdhsa_group_segment_fixed_size 3072
		.amdhsa_private_segment_fixed_size 0
		.amdhsa_kernarg_size 136
		.amdhsa_user_sgpr_count 6
		.amdhsa_user_sgpr_private_segment_buffer 1
		.amdhsa_user_sgpr_dispatch_ptr 0
		.amdhsa_user_sgpr_queue_ptr 0
		.amdhsa_user_sgpr_kernarg_segment_ptr 1
		.amdhsa_user_sgpr_dispatch_id 0
		.amdhsa_user_sgpr_flat_scratch_init 0
		.amdhsa_user_sgpr_private_segment_size 0
		.amdhsa_wavefront_size32 1
		.amdhsa_uses_dynamic_stack 0
		.amdhsa_system_sgpr_private_segment_wavefront_offset 0
		.amdhsa_system_sgpr_workgroup_id_x 1
		.amdhsa_system_sgpr_workgroup_id_y 1
		.amdhsa_system_sgpr_workgroup_id_z 1
		.amdhsa_system_sgpr_workgroup_info 0
		.amdhsa_system_vgpr_workitem_id 0
		.amdhsa_next_free_vgpr 39
		.amdhsa_next_free_sgpr 48
		.amdhsa_reserve_vcc 1
		.amdhsa_reserve_flat_scratch 0
		.amdhsa_float_round_mode_32 0
		.amdhsa_float_round_mode_16_64 0
		.amdhsa_float_denorm_mode_32 3
		.amdhsa_float_denorm_mode_16_64 3
		.amdhsa_dx10_clamp 1
		.amdhsa_ieee_mode 1
		.amdhsa_fp16_overflow 0
		.amdhsa_workgroup_processor_mode 1
		.amdhsa_memory_ordered 1
		.amdhsa_forward_progress 1
		.amdhsa_shared_vgpr_count 0
		.amdhsa_exception_fp_ieee_invalid_op 0
		.amdhsa_exception_fp_denorm_src 0
		.amdhsa_exception_fp_ieee_div_zero 0
		.amdhsa_exception_fp_ieee_overflow 0
		.amdhsa_exception_fp_ieee_underflow 0
		.amdhsa_exception_fp_ieee_inexact 0
		.amdhsa_exception_int_div_zero 0
	.end_amdhsa_kernel
	.section	.text._ZN9rocsparse31csrmmnn_row_split_shared_kernelILj256ELj8EfllDF16_DF16_fEEvNS_24const_host_device_scalarIT1_EES3_bbbT3_S4_llPKT2_PKS4_PKT4_PKT5_llPT6_ll16rocsparse_order_21rocsparse_index_base_,"axG",@progbits,_ZN9rocsparse31csrmmnn_row_split_shared_kernelILj256ELj8EfllDF16_DF16_fEEvNS_24const_host_device_scalarIT1_EES3_bbbT3_S4_llPKT2_PKS4_PKT4_PKT5_llPT6_ll16rocsparse_order_21rocsparse_index_base_,comdat
.Lfunc_end14:
	.size	_ZN9rocsparse31csrmmnn_row_split_shared_kernelILj256ELj8EfllDF16_DF16_fEEvNS_24const_host_device_scalarIT1_EES3_bbbT3_S4_llPKT2_PKS4_PKT4_PKT5_llPT6_ll16rocsparse_order_21rocsparse_index_base_, .Lfunc_end14-_ZN9rocsparse31csrmmnn_row_split_shared_kernelILj256ELj8EfllDF16_DF16_fEEvNS_24const_host_device_scalarIT1_EES3_bbbT3_S4_llPKT2_PKS4_PKT4_PKT5_llPT6_ll16rocsparse_order_21rocsparse_index_base_
                                        ; -- End function
	.set _ZN9rocsparse31csrmmnn_row_split_shared_kernelILj256ELj8EfllDF16_DF16_fEEvNS_24const_host_device_scalarIT1_EES3_bbbT3_S4_llPKT2_PKS4_PKT4_PKT5_llPT6_ll16rocsparse_order_21rocsparse_index_base_.num_vgpr, 39
	.set _ZN9rocsparse31csrmmnn_row_split_shared_kernelILj256ELj8EfllDF16_DF16_fEEvNS_24const_host_device_scalarIT1_EES3_bbbT3_S4_llPKT2_PKS4_PKT4_PKT5_llPT6_ll16rocsparse_order_21rocsparse_index_base_.num_agpr, 0
	.set _ZN9rocsparse31csrmmnn_row_split_shared_kernelILj256ELj8EfllDF16_DF16_fEEvNS_24const_host_device_scalarIT1_EES3_bbbT3_S4_llPKT2_PKS4_PKT4_PKT5_llPT6_ll16rocsparse_order_21rocsparse_index_base_.numbered_sgpr, 48
	.set _ZN9rocsparse31csrmmnn_row_split_shared_kernelILj256ELj8EfllDF16_DF16_fEEvNS_24const_host_device_scalarIT1_EES3_bbbT3_S4_llPKT2_PKS4_PKT4_PKT5_llPT6_ll16rocsparse_order_21rocsparse_index_base_.num_named_barrier, 0
	.set _ZN9rocsparse31csrmmnn_row_split_shared_kernelILj256ELj8EfllDF16_DF16_fEEvNS_24const_host_device_scalarIT1_EES3_bbbT3_S4_llPKT2_PKS4_PKT4_PKT5_llPT6_ll16rocsparse_order_21rocsparse_index_base_.private_seg_size, 0
	.set _ZN9rocsparse31csrmmnn_row_split_shared_kernelILj256ELj8EfllDF16_DF16_fEEvNS_24const_host_device_scalarIT1_EES3_bbbT3_S4_llPKT2_PKS4_PKT4_PKT5_llPT6_ll16rocsparse_order_21rocsparse_index_base_.uses_vcc, 1
	.set _ZN9rocsparse31csrmmnn_row_split_shared_kernelILj256ELj8EfllDF16_DF16_fEEvNS_24const_host_device_scalarIT1_EES3_bbbT3_S4_llPKT2_PKS4_PKT4_PKT5_llPT6_ll16rocsparse_order_21rocsparse_index_base_.uses_flat_scratch, 0
	.set _ZN9rocsparse31csrmmnn_row_split_shared_kernelILj256ELj8EfllDF16_DF16_fEEvNS_24const_host_device_scalarIT1_EES3_bbbT3_S4_llPKT2_PKS4_PKT4_PKT5_llPT6_ll16rocsparse_order_21rocsparse_index_base_.has_dyn_sized_stack, 0
	.set _ZN9rocsparse31csrmmnn_row_split_shared_kernelILj256ELj8EfllDF16_DF16_fEEvNS_24const_host_device_scalarIT1_EES3_bbbT3_S4_llPKT2_PKS4_PKT4_PKT5_llPT6_ll16rocsparse_order_21rocsparse_index_base_.has_recursion, 0
	.set _ZN9rocsparse31csrmmnn_row_split_shared_kernelILj256ELj8EfllDF16_DF16_fEEvNS_24const_host_device_scalarIT1_EES3_bbbT3_S4_llPKT2_PKS4_PKT4_PKT5_llPT6_ll16rocsparse_order_21rocsparse_index_base_.has_indirect_call, 0
	.section	.AMDGPU.csdata,"",@progbits
; Kernel info:
; codeLenInByte = 1692
; TotalNumSgprs: 50
; NumVgprs: 39
; ScratchSize: 0
; MemoryBound: 1
; FloatMode: 240
; IeeeMode: 1
; LDSByteSize: 3072 bytes/workgroup (compile time only)
; SGPRBlocks: 0
; VGPRBlocks: 4
; NumSGPRsForWavesPerEU: 50
; NumVGPRsForWavesPerEU: 39
; Occupancy: 16
; WaveLimiterHint : 0
; COMPUTE_PGM_RSRC2:SCRATCH_EN: 0
; COMPUTE_PGM_RSRC2:USER_SGPR: 6
; COMPUTE_PGM_RSRC2:TRAP_HANDLER: 0
; COMPUTE_PGM_RSRC2:TGID_X_EN: 1
; COMPUTE_PGM_RSRC2:TGID_Y_EN: 1
; COMPUTE_PGM_RSRC2:TGID_Z_EN: 1
; COMPUTE_PGM_RSRC2:TIDIG_COMP_CNT: 0
	.section	.text._ZN9rocsparse31csrmmnn_row_split_shared_kernelILj256ELj8EiiiaaiEEvNS_24const_host_device_scalarIT1_EES3_bbbT3_S4_llPKT2_PKS4_PKT4_PKT5_llPT6_ll16rocsparse_order_21rocsparse_index_base_,"axG",@progbits,_ZN9rocsparse31csrmmnn_row_split_shared_kernelILj256ELj8EiiiaaiEEvNS_24const_host_device_scalarIT1_EES3_bbbT3_S4_llPKT2_PKS4_PKT4_PKT5_llPT6_ll16rocsparse_order_21rocsparse_index_base_,comdat
	.protected	_ZN9rocsparse31csrmmnn_row_split_shared_kernelILj256ELj8EiiiaaiEEvNS_24const_host_device_scalarIT1_EES3_bbbT3_S4_llPKT2_PKS4_PKT4_PKT5_llPT6_ll16rocsparse_order_21rocsparse_index_base_ ; -- Begin function _ZN9rocsparse31csrmmnn_row_split_shared_kernelILj256ELj8EiiiaaiEEvNS_24const_host_device_scalarIT1_EES3_bbbT3_S4_llPKT2_PKS4_PKT4_PKT5_llPT6_ll16rocsparse_order_21rocsparse_index_base_
	.globl	_ZN9rocsparse31csrmmnn_row_split_shared_kernelILj256ELj8EiiiaaiEEvNS_24const_host_device_scalarIT1_EES3_bbbT3_S4_llPKT2_PKS4_PKT4_PKT5_llPT6_ll16rocsparse_order_21rocsparse_index_base_
	.p2align	8
	.type	_ZN9rocsparse31csrmmnn_row_split_shared_kernelILj256ELj8EiiiaaiEEvNS_24const_host_device_scalarIT1_EES3_bbbT3_S4_llPKT2_PKS4_PKT4_PKT5_llPT6_ll16rocsparse_order_21rocsparse_index_base_,@function
_ZN9rocsparse31csrmmnn_row_split_shared_kernelILj256ELj8EiiiaaiEEvNS_24const_host_device_scalarIT1_EES3_bbbT3_S4_llPKT2_PKS4_PKT4_PKT5_llPT6_ll16rocsparse_order_21rocsparse_index_base_: ; @_ZN9rocsparse31csrmmnn_row_split_shared_kernelILj256ELj8EiiiaaiEEvNS_24const_host_device_scalarIT1_EES3_bbbT3_S4_llPKT2_PKS4_PKT4_PKT5_llPT6_ll16rocsparse_order_21rocsparse_index_base_
; %bb.0:
	s_load_dwordx8 s[24:31], s[4:5], 0x0
	s_mov_b32 s1, -1
	s_waitcnt lgkmcnt(0)
	s_bitcmp1_b32 s28, 0
                                        ; implicit-def: $sgpr28
	s_cselect_b32 s0, -1, 0
	s_xor_b32 s0, s0, -1
	s_and_b32 vcc_lo, exec_lo, s0
	s_cbranch_vccnz .LBB15_4
; %bb.1:
	s_andn2_b32 vcc_lo, exec_lo, s1
	s_cbranch_vccz .LBB15_5
.LBB15_2:
	s_and_b32 vcc_lo, exec_lo, s0
	s_cbranch_vccz .LBB15_6
.LBB15_3:
	s_load_dword s9, s[26:27], 0x0
	s_cbranch_execz .LBB15_7
	s_branch .LBB15_8
.LBB15_4:
	s_load_dword s28, s[24:25], 0x0
	s_cbranch_execnz .LBB15_2
.LBB15_5:
	s_waitcnt lgkmcnt(0)
	s_mov_b32 s28, s24
	s_and_b32 vcc_lo, exec_lo, s0
	s_cbranch_vccnz .LBB15_3
.LBB15_6:
                                        ; implicit-def: $sgpr9
.LBB15_7:
	s_waitcnt lgkmcnt(0)
	s_mov_b32 s9, s26
.LBB15_8:
	s_waitcnt lgkmcnt(0)
	s_cmp_eq_u32 s28, 0
	s_cselect_b32 s0, -1, 0
	s_cmp_eq_u32 s9, 1
	s_cselect_b32 s1, -1, 0
	s_and_b32 s0, s0, s1
	s_and_b32 vcc_lo, exec_lo, s0
	s_cbranch_vccnz .LBB15_25
; %bb.9:
	v_lshl_or_b32 v1, s6, 8, v0
	s_mov_b32 s0, exec_lo
	v_lshrrev_b32_e32 v6, 3, v1
	v_cmpx_gt_i32_e64 s29, v6
	s_cbranch_execz .LBB15_25
; %bb.10:
	s_load_dwordx16 s[12:27], s[4:5], 0x20
	s_ashr_i32 s6, s8, 31
	v_lshlrev_b32_e32 v5, 2, v6
	s_load_dwordx2 s[10:11], s[4:5], 0x78
	v_and_b32_e32 v7, 7, v0
	v_mov_b32_e32 v8, 0
	v_lshl_or_b32 v1, s7, 3, v7
	v_ashrrev_i32_e32 v2, 31, v1
	s_waitcnt lgkmcnt(0)
	s_mul_hi_u32 s0, s12, s8
	s_mul_i32 s1, s12, s6
	s_mul_i32 s2, s13, s8
	s_add_i32 s1, s0, s1
	s_mul_i32 s0, s12, s8
	s_add_i32 s1, s1, s2
	s_lshl_b64 s[0:1], s[0:1], 2
	s_add_u32 s0, s16, s0
	s_addc_u32 s1, s17, s1
	global_load_dwordx2 v[3:4], v5, s[0:1]
	s_mov_b32 s1, exec_lo
	s_waitcnt vmcnt(0)
	v_cmpx_lt_i32_e64 v3, v4
	s_cbranch_execz .LBB15_18
; %bb.11:
	v_mul_lo_u32 v8, s24, v2
	v_mul_lo_u32 v11, s25, v1
	v_mad_u64_u32 v[13:14], null, s24, v1, s[22:23]
	v_lshlrev_b32_e32 v0, 2, v0
	v_subrev_nc_u32_e32 v9, s11, v4
	v_subrev_nc_u32_e32 v10, s11, v3
	v_lshlrev_b32_e32 v15, 2, v7
	s_mul_i32 s3, s27, s8
	v_and_b32_e32 v0, 0x3e0, v0
	v_add3_u32 v14, v11, v14, v8
	s_mul_i32 s7, s26, s6
	s_mul_i32 s0, s14, s6
	s_mul_hi_u32 s2, s14, s8
	v_or_b32_e32 v12, 0x400, v0
	v_mad_u64_u32 v[3:4], null, s26, s8, v[13:14]
	v_or_b32_e32 v11, v0, v15
	v_mov_b32_e32 v8, 0
	v_or_b32_e32 v13, v12, v15
	s_add_i32 s0, s2, s0
	s_mul_i32 s2, s15, s8
	v_cmp_gt_i32_e32 vcc_lo, s30, v1
	v_add3_u32 v4, s7, s3, v4
	s_add_i32 s2, s0, s2
	s_mul_i32 s7, s14, s8
	s_mov_b32 s3, 0
	s_branch .LBB15_13
.LBB15_12:                              ;   in Loop: Header=BB15_13 Depth=1
	s_or_b32 exec_lo, exec_lo, s12
	v_add_nc_u32_e32 v10, 8, v10
	v_cmp_ge_i32_e64 s0, v10, v9
	s_or_b32 s3, s0, s3
	s_andn2_b32 exec_lo, exec_lo, s3
	s_cbranch_execz .LBB15_17
.LBB15_13:                              ; =>This Inner Loop Header: Depth=1
	v_add_nc_u32_e32 v14, v7, v10
	v_mov_b32_e32 v15, 0
	v_mov_b32_e32 v16, 0
	s_mov_b32 s12, exec_lo
	s_barrier
	buffer_gl0_inv
	v_cmpx_lt_i32_e64 v14, v9
	s_cbranch_execz .LBB15_15
; %bb.14:                               ;   in Loop: Header=BB15_13 Depth=1
	v_ashrrev_i32_e32 v15, 31, v14
	v_add_co_u32 v14, s0, s7, v14
	v_add_co_ci_u32_e64 v15, null, s2, v15, s0
	v_lshlrev_b64 v[16:17], 2, v[14:15]
	v_add_co_u32 v16, s0, s18, v16
	v_add_co_ci_u32_e64 v17, null, s19, v17, s0
	v_add_co_u32 v14, s0, s20, v14
	v_add_co_ci_u32_e64 v15, null, s21, v15, s0
	global_load_dword v17, v[16:17], off
	global_load_sbyte v16, v[14:15], off
	s_waitcnt vmcnt(1)
	v_subrev_nc_u32_e32 v15, s11, v17
.LBB15_15:                              ;   in Loop: Header=BB15_13 Depth=1
	s_or_b32 exec_lo, exec_lo, s12
	ds_write_b32 v11, v15
	s_waitcnt vmcnt(0)
	ds_write_b32 v13, v16
	s_waitcnt lgkmcnt(0)
	s_barrier
	buffer_gl0_inv
	s_and_saveexec_b32 s12, vcc_lo
	s_cbranch_execz .LBB15_12
; %bb.16:                               ;   in Loop: Header=BB15_13 Depth=1
	ds_read_b128 v[14:17], v0
	ds_read_b128 v[18:21], v0 offset:16
	s_waitcnt lgkmcnt(1)
	v_ashrrev_i32_e32 v23, 31, v14
	v_ashrrev_i32_e32 v24, 31, v15
	v_add_co_u32 v22, s0, v3, v14
	v_ashrrev_i32_e32 v25, 31, v16
	v_add_co_ci_u32_e64 v23, null, v4, v23, s0
	v_add_co_u32 v14, s0, v3, v15
	v_ashrrev_i32_e32 v26, 31, v17
	v_add_co_ci_u32_e64 v15, null, v4, v24, s0
	v_add_co_u32 v24, s0, v3, v16
	v_add_co_ci_u32_e64 v25, null, v4, v25, s0
	v_add_co_u32 v16, s0, v3, v17
	s_waitcnt lgkmcnt(0)
	v_ashrrev_i32_e32 v27, 31, v18
	v_add_co_ci_u32_e64 v17, null, v4, v26, s0
	v_ashrrev_i32_e32 v26, 31, v19
	s_clause 0x3
	global_load_sbyte v22, v[22:23], off
	global_load_sbyte v23, v[14:15], off
	;; [unrolled: 1-line block ×4, first 2 shown]
	v_add_co_u32 v14, s0, v3, v18
	v_add_co_ci_u32_e64 v15, null, v4, v27, s0
	v_add_co_u32 v16, s0, v3, v19
	v_ashrrev_i32_e32 v19, 31, v20
	v_add_co_ci_u32_e64 v17, null, v4, v26, s0
	v_ashrrev_i32_e32 v26, 31, v21
	v_add_co_u32 v18, s0, v3, v20
	v_add_co_ci_u32_e64 v19, null, v4, v19, s0
	v_add_co_u32 v20, s0, v3, v21
	v_add_co_ci_u32_e64 v21, null, v4, v26, s0
	s_clause 0x3
	global_load_sbyte v26, v[14:15], off
	global_load_sbyte v27, v[16:17], off
	;; [unrolled: 1-line block ×4, first 2 shown]
	ds_read_b128 v[14:17], v12
	ds_read_b128 v[18:21], v12 offset:16
	s_waitcnt vmcnt(7) lgkmcnt(1)
	v_mul_lo_u32 v14, v14, v22
	s_waitcnt vmcnt(6)
	v_mul_lo_u32 v15, v15, v23
	s_waitcnt vmcnt(5)
	;; [unrolled: 2-line block ×3, first 2 shown]
	v_mul_lo_u32 v17, v17, v25
	v_add3_u32 v8, v14, v8, v15
	v_add3_u32 v8, v8, v16, v17
	s_waitcnt vmcnt(3) lgkmcnt(0)
	v_mul_lo_u32 v14, v18, v26
	s_waitcnt vmcnt(2)
	v_mul_lo_u32 v15, v19, v27
	s_waitcnt vmcnt(1)
	;; [unrolled: 2-line block ×3, first 2 shown]
	v_mul_lo_u32 v17, v21, v29
	v_add3_u32 v8, v8, v14, v15
	v_add3_u32 v8, v8, v16, v17
	s_branch .LBB15_12
.LBB15_17:
	s_or_b32 exec_lo, exec_lo, s3
.LBB15_18:
	s_or_b32 exec_lo, exec_lo, s1
	v_cmp_gt_i32_e32 vcc_lo, s30, v1
	s_and_b32 exec_lo, exec_lo, vcc_lo
	s_cbranch_execz .LBB15_25
; %bb.19:
	s_clause 0x1
	s_load_dwordx2 s[12:13], s[4:5], 0x70
	s_load_dwordx4 s[0:3], s[4:5], 0x60
	v_mul_lo_u32 v0, v8, s28
	s_cmp_lg_u32 s10, 1
	s_cselect_b32 s7, -1, 0
	s_cmp_lg_u32 s9, 0
	s_waitcnt lgkmcnt(0)
	s_mul_i32 s10, s12, s6
	s_mul_hi_u32 s11, s12, s8
	s_mul_i32 s6, s13, s8
	s_mul_i32 s4, s12, s8
	s_cbranch_scc0 .LBB15_26
; %bb.20:
	s_add_i32 s5, s11, s10
	s_and_b32 vcc_lo, exec_lo, s7
	s_add_i32 s5, s5, s6
	s_mov_b32 s8, -1
	s_cbranch_vccz .LBB15_22
; %bb.21:
	v_mad_u64_u32 v[3:4], null, s2, v6, 0
	s_lshl_b64 s[12:13], s[4:5], 2
	s_mov_b32 s8, 0
	v_mad_u64_u32 v[7:8], null, s3, v6, v[4:5]
	v_mov_b32_e32 v4, v7
	v_lshlrev_b64 v[7:8], 2, v[1:2]
	v_lshlrev_b64 v[3:4], 2, v[3:4]
	v_add_co_u32 v3, vcc_lo, s0, v3
	v_add_co_ci_u32_e64 v4, null, s1, v4, vcc_lo
	v_add_co_u32 v3, vcc_lo, v3, v7
	v_add_co_ci_u32_e64 v4, null, v4, v8, vcc_lo
	;; [unrolled: 2-line block ×3, first 2 shown]
	global_load_dword v7, v[3:4], off
	s_waitcnt vmcnt(0)
	v_mad_u64_u32 v[7:8], null, v7, s9, v[0:1]
	global_store_dword v[3:4], v7, off
.LBB15_22:
	s_andn2_b32 vcc_lo, exec_lo, s8
	s_cbranch_vccnz .LBB15_24
; %bb.23:
	v_mul_lo_u32 v7, s3, v1
	v_mul_lo_u32 v8, s2, v2
	v_mad_u64_u32 v[3:4], null, s2, v1, 0
	s_lshl_b64 s[12:13], s[4:5], 2
	v_add3_u32 v4, v4, v8, v7
	v_lshlrev_b64 v[3:4], 2, v[3:4]
	v_add_co_u32 v3, vcc_lo, s0, v3
	v_add_co_ci_u32_e64 v4, null, s1, v4, vcc_lo
	v_add_co_u32 v3, vcc_lo, v3, v5
	v_add_co_ci_u32_e64 v4, null, 0, v4, vcc_lo
	;; [unrolled: 2-line block ×3, first 2 shown]
	global_load_dword v7, v[3:4], off
	s_waitcnt vmcnt(0)
	v_mad_u64_u32 v[7:8], null, v7, s9, v[0:1]
	global_store_dword v[3:4], v7, off
.LBB15_24:
	s_cbranch_execz .LBB15_27
.LBB15_25:
	s_endpgm
.LBB15_26:
.LBB15_27:
	s_add_i32 s5, s11, s10
	s_and_b32 vcc_lo, exec_lo, s7
	s_add_i32 s5, s5, s6
	s_mov_b32 s6, -1
	s_cbranch_vccz .LBB15_29
; %bb.28:
	v_mad_u64_u32 v[3:4], null, s2, v6, 0
	s_lshl_b64 s[6:7], s[4:5], 2
	v_mad_u64_u32 v[6:7], null, s3, v6, v[4:5]
	v_mov_b32_e32 v4, v6
	v_lshlrev_b64 v[6:7], 2, v[1:2]
	v_lshlrev_b64 v[3:4], 2, v[3:4]
	v_add_co_u32 v3, vcc_lo, s0, v3
	v_add_co_ci_u32_e64 v4, null, s1, v4, vcc_lo
	v_add_co_u32 v3, vcc_lo, v3, v6
	v_add_co_ci_u32_e64 v4, null, v4, v7, vcc_lo
	v_add_co_u32 v3, vcc_lo, v3, s6
	v_add_co_ci_u32_e64 v4, null, s7, v4, vcc_lo
	s_mov_b32 s6, 0
	global_store_dword v[3:4], v0, off
.LBB15_29:
	s_andn2_b32 vcc_lo, exec_lo, s6
	s_cbranch_vccnz .LBB15_25
; %bb.30:
	v_mul_lo_u32 v3, s3, v1
	v_mul_lo_u32 v4, s2, v2
	v_mad_u64_u32 v[1:2], null, s2, v1, 0
	v_add3_u32 v2, v2, v4, v3
	v_lshlrev_b64 v[1:2], 2, v[1:2]
	v_add_co_u32 v1, vcc_lo, s0, v1
	v_add_co_ci_u32_e64 v2, null, s1, v2, vcc_lo
	s_lshl_b64 s[0:1], s[4:5], 2
	v_add_co_u32 v1, vcc_lo, v1, v5
	v_add_co_ci_u32_e64 v2, null, 0, v2, vcc_lo
	v_add_co_u32 v1, vcc_lo, v1, s0
	v_add_co_ci_u32_e64 v2, null, s1, v2, vcc_lo
	global_store_dword v[1:2], v0, off
	s_endpgm
	.section	.rodata,"a",@progbits
	.p2align	6, 0x0
	.amdhsa_kernel _ZN9rocsparse31csrmmnn_row_split_shared_kernelILj256ELj8EiiiaaiEEvNS_24const_host_device_scalarIT1_EES3_bbbT3_S4_llPKT2_PKS4_PKT4_PKT5_llPT6_ll16rocsparse_order_21rocsparse_index_base_
		.amdhsa_group_segment_fixed_size 2048
		.amdhsa_private_segment_fixed_size 0
		.amdhsa_kernarg_size 128
		.amdhsa_user_sgpr_count 6
		.amdhsa_user_sgpr_private_segment_buffer 1
		.amdhsa_user_sgpr_dispatch_ptr 0
		.amdhsa_user_sgpr_queue_ptr 0
		.amdhsa_user_sgpr_kernarg_segment_ptr 1
		.amdhsa_user_sgpr_dispatch_id 0
		.amdhsa_user_sgpr_flat_scratch_init 0
		.amdhsa_user_sgpr_private_segment_size 0
		.amdhsa_wavefront_size32 1
		.amdhsa_uses_dynamic_stack 0
		.amdhsa_system_sgpr_private_segment_wavefront_offset 0
		.amdhsa_system_sgpr_workgroup_id_x 1
		.amdhsa_system_sgpr_workgroup_id_y 1
		.amdhsa_system_sgpr_workgroup_id_z 1
		.amdhsa_system_sgpr_workgroup_info 0
		.amdhsa_system_vgpr_workitem_id 0
		.amdhsa_next_free_vgpr 30
		.amdhsa_next_free_sgpr 32
		.amdhsa_reserve_vcc 1
		.amdhsa_reserve_flat_scratch 0
		.amdhsa_float_round_mode_32 0
		.amdhsa_float_round_mode_16_64 0
		.amdhsa_float_denorm_mode_32 3
		.amdhsa_float_denorm_mode_16_64 3
		.amdhsa_dx10_clamp 1
		.amdhsa_ieee_mode 1
		.amdhsa_fp16_overflow 0
		.amdhsa_workgroup_processor_mode 1
		.amdhsa_memory_ordered 1
		.amdhsa_forward_progress 1
		.amdhsa_shared_vgpr_count 0
		.amdhsa_exception_fp_ieee_invalid_op 0
		.amdhsa_exception_fp_denorm_src 0
		.amdhsa_exception_fp_ieee_div_zero 0
		.amdhsa_exception_fp_ieee_overflow 0
		.amdhsa_exception_fp_ieee_underflow 0
		.amdhsa_exception_fp_ieee_inexact 0
		.amdhsa_exception_int_div_zero 0
	.end_amdhsa_kernel
	.section	.text._ZN9rocsparse31csrmmnn_row_split_shared_kernelILj256ELj8EiiiaaiEEvNS_24const_host_device_scalarIT1_EES3_bbbT3_S4_llPKT2_PKS4_PKT4_PKT5_llPT6_ll16rocsparse_order_21rocsparse_index_base_,"axG",@progbits,_ZN9rocsparse31csrmmnn_row_split_shared_kernelILj256ELj8EiiiaaiEEvNS_24const_host_device_scalarIT1_EES3_bbbT3_S4_llPKT2_PKS4_PKT4_PKT5_llPT6_ll16rocsparse_order_21rocsparse_index_base_,comdat
.Lfunc_end15:
	.size	_ZN9rocsparse31csrmmnn_row_split_shared_kernelILj256ELj8EiiiaaiEEvNS_24const_host_device_scalarIT1_EES3_bbbT3_S4_llPKT2_PKS4_PKT4_PKT5_llPT6_ll16rocsparse_order_21rocsparse_index_base_, .Lfunc_end15-_ZN9rocsparse31csrmmnn_row_split_shared_kernelILj256ELj8EiiiaaiEEvNS_24const_host_device_scalarIT1_EES3_bbbT3_S4_llPKT2_PKS4_PKT4_PKT5_llPT6_ll16rocsparse_order_21rocsparse_index_base_
                                        ; -- End function
	.set _ZN9rocsparse31csrmmnn_row_split_shared_kernelILj256ELj8EiiiaaiEEvNS_24const_host_device_scalarIT1_EES3_bbbT3_S4_llPKT2_PKS4_PKT4_PKT5_llPT6_ll16rocsparse_order_21rocsparse_index_base_.num_vgpr, 30
	.set _ZN9rocsparse31csrmmnn_row_split_shared_kernelILj256ELj8EiiiaaiEEvNS_24const_host_device_scalarIT1_EES3_bbbT3_S4_llPKT2_PKS4_PKT4_PKT5_llPT6_ll16rocsparse_order_21rocsparse_index_base_.num_agpr, 0
	.set _ZN9rocsparse31csrmmnn_row_split_shared_kernelILj256ELj8EiiiaaiEEvNS_24const_host_device_scalarIT1_EES3_bbbT3_S4_llPKT2_PKS4_PKT4_PKT5_llPT6_ll16rocsparse_order_21rocsparse_index_base_.numbered_sgpr, 32
	.set _ZN9rocsparse31csrmmnn_row_split_shared_kernelILj256ELj8EiiiaaiEEvNS_24const_host_device_scalarIT1_EES3_bbbT3_S4_llPKT2_PKS4_PKT4_PKT5_llPT6_ll16rocsparse_order_21rocsparse_index_base_.num_named_barrier, 0
	.set _ZN9rocsparse31csrmmnn_row_split_shared_kernelILj256ELj8EiiiaaiEEvNS_24const_host_device_scalarIT1_EES3_bbbT3_S4_llPKT2_PKS4_PKT4_PKT5_llPT6_ll16rocsparse_order_21rocsparse_index_base_.private_seg_size, 0
	.set _ZN9rocsparse31csrmmnn_row_split_shared_kernelILj256ELj8EiiiaaiEEvNS_24const_host_device_scalarIT1_EES3_bbbT3_S4_llPKT2_PKS4_PKT4_PKT5_llPT6_ll16rocsparse_order_21rocsparse_index_base_.uses_vcc, 1
	.set _ZN9rocsparse31csrmmnn_row_split_shared_kernelILj256ELj8EiiiaaiEEvNS_24const_host_device_scalarIT1_EES3_bbbT3_S4_llPKT2_PKS4_PKT4_PKT5_llPT6_ll16rocsparse_order_21rocsparse_index_base_.uses_flat_scratch, 0
	.set _ZN9rocsparse31csrmmnn_row_split_shared_kernelILj256ELj8EiiiaaiEEvNS_24const_host_device_scalarIT1_EES3_bbbT3_S4_llPKT2_PKS4_PKT4_PKT5_llPT6_ll16rocsparse_order_21rocsparse_index_base_.has_dyn_sized_stack, 0
	.set _ZN9rocsparse31csrmmnn_row_split_shared_kernelILj256ELj8EiiiaaiEEvNS_24const_host_device_scalarIT1_EES3_bbbT3_S4_llPKT2_PKS4_PKT4_PKT5_llPT6_ll16rocsparse_order_21rocsparse_index_base_.has_recursion, 0
	.set _ZN9rocsparse31csrmmnn_row_split_shared_kernelILj256ELj8EiiiaaiEEvNS_24const_host_device_scalarIT1_EES3_bbbT3_S4_llPKT2_PKS4_PKT4_PKT5_llPT6_ll16rocsparse_order_21rocsparse_index_base_.has_indirect_call, 0
	.section	.AMDGPU.csdata,"",@progbits
; Kernel info:
; codeLenInByte = 1608
; TotalNumSgprs: 34
; NumVgprs: 30
; ScratchSize: 0
; MemoryBound: 0
; FloatMode: 240
; IeeeMode: 1
; LDSByteSize: 2048 bytes/workgroup (compile time only)
; SGPRBlocks: 0
; VGPRBlocks: 3
; NumSGPRsForWavesPerEU: 34
; NumVGPRsForWavesPerEU: 30
; Occupancy: 16
; WaveLimiterHint : 1
; COMPUTE_PGM_RSRC2:SCRATCH_EN: 0
; COMPUTE_PGM_RSRC2:USER_SGPR: 6
; COMPUTE_PGM_RSRC2:TRAP_HANDLER: 0
; COMPUTE_PGM_RSRC2:TGID_X_EN: 1
; COMPUTE_PGM_RSRC2:TGID_Y_EN: 1
; COMPUTE_PGM_RSRC2:TGID_Z_EN: 1
; COMPUTE_PGM_RSRC2:TIDIG_COMP_CNT: 0
	.section	.text._ZN9rocsparse31csrmmnn_row_split_shared_kernelILj256ELj8EiliaaiEEvNS_24const_host_device_scalarIT1_EES3_bbbT3_S4_llPKT2_PKS4_PKT4_PKT5_llPT6_ll16rocsparse_order_21rocsparse_index_base_,"axG",@progbits,_ZN9rocsparse31csrmmnn_row_split_shared_kernelILj256ELj8EiliaaiEEvNS_24const_host_device_scalarIT1_EES3_bbbT3_S4_llPKT2_PKS4_PKT4_PKT5_llPT6_ll16rocsparse_order_21rocsparse_index_base_,comdat
	.protected	_ZN9rocsparse31csrmmnn_row_split_shared_kernelILj256ELj8EiliaaiEEvNS_24const_host_device_scalarIT1_EES3_bbbT3_S4_llPKT2_PKS4_PKT4_PKT5_llPT6_ll16rocsparse_order_21rocsparse_index_base_ ; -- Begin function _ZN9rocsparse31csrmmnn_row_split_shared_kernelILj256ELj8EiliaaiEEvNS_24const_host_device_scalarIT1_EES3_bbbT3_S4_llPKT2_PKS4_PKT4_PKT5_llPT6_ll16rocsparse_order_21rocsparse_index_base_
	.globl	_ZN9rocsparse31csrmmnn_row_split_shared_kernelILj256ELj8EiliaaiEEvNS_24const_host_device_scalarIT1_EES3_bbbT3_S4_llPKT2_PKS4_PKT4_PKT5_llPT6_ll16rocsparse_order_21rocsparse_index_base_
	.p2align	8
	.type	_ZN9rocsparse31csrmmnn_row_split_shared_kernelILj256ELj8EiliaaiEEvNS_24const_host_device_scalarIT1_EES3_bbbT3_S4_llPKT2_PKS4_PKT4_PKT5_llPT6_ll16rocsparse_order_21rocsparse_index_base_,@function
_ZN9rocsparse31csrmmnn_row_split_shared_kernelILj256ELj8EiliaaiEEvNS_24const_host_device_scalarIT1_EES3_bbbT3_S4_llPKT2_PKS4_PKT4_PKT5_llPT6_ll16rocsparse_order_21rocsparse_index_base_: ; @_ZN9rocsparse31csrmmnn_row_split_shared_kernelILj256ELj8EiliaaiEEvNS_24const_host_device_scalarIT1_EES3_bbbT3_S4_llPKT2_PKS4_PKT4_PKT5_llPT6_ll16rocsparse_order_21rocsparse_index_base_
; %bb.0:
	s_load_dwordx8 s[24:31], s[4:5], 0x0
	s_mov_b32 s1, -1
	s_waitcnt lgkmcnt(0)
	s_bitcmp1_b32 s28, 0
                                        ; implicit-def: $sgpr28
	s_cselect_b32 s0, -1, 0
	s_xor_b32 s0, s0, -1
	s_and_b32 vcc_lo, exec_lo, s0
	s_cbranch_vccnz .LBB16_4
; %bb.1:
	s_andn2_b32 vcc_lo, exec_lo, s1
	s_cbranch_vccz .LBB16_5
.LBB16_2:
	s_and_b32 vcc_lo, exec_lo, s0
	s_cbranch_vccz .LBB16_6
.LBB16_3:
	s_load_dword s9, s[26:27], 0x0
	s_cbranch_execz .LBB16_7
	s_branch .LBB16_8
.LBB16_4:
	s_load_dword s28, s[24:25], 0x0
	s_cbranch_execnz .LBB16_2
.LBB16_5:
	s_waitcnt lgkmcnt(0)
	s_mov_b32 s28, s24
	s_and_b32 vcc_lo, exec_lo, s0
	s_cbranch_vccnz .LBB16_3
.LBB16_6:
                                        ; implicit-def: $sgpr9
.LBB16_7:
	s_waitcnt lgkmcnt(0)
	s_mov_b32 s9, s26
.LBB16_8:
	s_waitcnt lgkmcnt(0)
	s_cmp_eq_u32 s28, 0
	s_cselect_b32 s0, -1, 0
	s_cmp_eq_u32 s9, 1
	s_cselect_b32 s1, -1, 0
	s_and_b32 s0, s0, s1
	s_and_b32 vcc_lo, exec_lo, s0
	s_cbranch_vccnz .LBB16_25
; %bb.9:
	v_lshl_or_b32 v1, s6, 8, v0
	s_mov_b32 s0, exec_lo
	v_lshrrev_b32_e32 v11, 3, v1
	v_cmpx_gt_i32_e64 s29, v11
	s_cbranch_execz .LBB16_25
; %bb.10:
	s_load_dwordx16 s[12:27], s[4:5], 0x20
	s_ashr_i32 s6, s8, 31
	v_lshlrev_b32_e32 v1, 3, v11
	s_load_dwordx2 s[10:11], s[4:5], 0x78
	v_and_b32_e32 v12, 7, v0
	v_mov_b32_e32 v13, 0
	v_lshl_or_b32 v5, s7, 3, v12
	v_ashrrev_i32_e32 v6, 31, v5
	s_waitcnt lgkmcnt(0)
	s_mul_hi_u32 s0, s12, s8
	s_mul_i32 s1, s12, s6
	s_mul_i32 s2, s13, s8
	s_add_i32 s1, s0, s1
	s_mul_i32 s0, s12, s8
	s_add_i32 s1, s1, s2
	s_mov_b32 s2, exec_lo
	s_lshl_b64 s[0:1], s[0:1], 3
	s_add_u32 s0, s16, s0
	s_addc_u32 s1, s17, s1
	global_load_dwordx4 v[1:4], v1, s[0:1]
	s_waitcnt vmcnt(0)
	v_cmpx_lt_i64_e64 v[1:2], v[3:4]
	s_cbranch_execz .LBB16_18
; %bb.11:
	v_lshlrev_b32_e32 v0, 2, v0
	v_sub_co_u32 v3, vcc_lo, v3, s11
	v_subrev_co_ci_u32_e64 v4, null, 0, v4, vcc_lo
	v_sub_co_u32 v7, vcc_lo, v1, s11
	v_and_b32_e32 v14, 0x3e0, v0
	v_mad_u64_u32 v[0:1], null, s14, s8, v[1:2]
	s_mul_i32 s0, s15, s8
	s_mul_i32 s1, s14, s6
	v_mul_lo_u32 v17, s24, v6
	s_add_i32 s0, s1, s0
	v_mul_lo_u32 v18, s25, v5
	v_mad_u64_u32 v[9:10], null, s24, v5, s[22:23]
	v_add_nc_u32_e32 v1, s0, v1
	v_subrev_co_ci_u32_e64 v8, null, 0, v2, vcc_lo
	v_add_co_u32 v0, vcc_lo, v0, v12
	v_add_co_ci_u32_e64 v1, null, 0, v1, vcc_lo
	v_add3_u32 v10, v18, v10, v17
	v_sub_co_u32 v17, vcc_lo, v0, s11
	v_subrev_co_ci_u32_e64 v18, null, 0, v1, vcc_lo
	v_mad_u64_u32 v[0:1], null, s26, s8, v[9:10]
	s_mul_hi_u32 s1, s14, s8
	v_lshlrev_b64 v[9:10], 2, v[17:18]
	s_add_i32 s1, s0, s1
	s_mul_i32 s0, s27, s8
	s_mul_i32 s7, s26, s6
	;; [unrolled: 1-line block ×3, first 2 shown]
	v_add3_u32 v1, s7, s0, v1
	v_add_co_u32 v9, s0, s18, v9
	v_lshlrev_b32_e32 v16, 2, v12
	v_or_b32_e32 v15, 0x400, v14
	v_add_co_ci_u32_e64 v10, null, s19, v10, s0
	s_add_u32 s0, s20, s3
	s_addc_u32 s1, s21, s1
	v_add_co_u32 v17, s0, s0, v12
	v_mov_b32_e32 v13, 0
	v_or_b32_e32 v2, v14, v16
	v_or_b32_e32 v16, v15, v16
	v_add_co_ci_u32_e64 v18, null, s1, 0, s0
	s_mov_b32 s3, 0
	v_cmp_gt_i32_e32 vcc_lo, s30, v5
	s_branch .LBB16_13
.LBB16_12:                              ;   in Loop: Header=BB16_13 Depth=1
	s_or_b32 exec_lo, exec_lo, s1
	v_add_co_u32 v7, s0, v7, 8
	v_add_co_ci_u32_e64 v8, null, 0, v8, s0
	v_add_co_u32 v9, s1, v9, 32
	v_add_co_ci_u32_e64 v10, null, 0, v10, s1
	v_cmp_ge_i64_e64 s0, v[7:8], v[3:4]
	s_or_b32 s3, s0, s3
	s_andn2_b32 exec_lo, exec_lo, s3
	s_cbranch_execz .LBB16_17
.LBB16_13:                              ; =>This Inner Loop Header: Depth=1
	v_add_co_u32 v19, s0, v12, v7
	v_add_co_ci_u32_e64 v20, null, 0, v8, s0
	s_barrier
	buffer_gl0_inv
	v_cmp_lt_i64_e64 s0, v[19:20], v[3:4]
	v_mov_b32_e32 v20, 0
	v_mov_b32_e32 v19, 0
	s_and_saveexec_b32 s1, s0
	s_cbranch_execz .LBB16_15
; %bb.14:                               ;   in Loop: Header=BB16_13 Depth=1
	v_add_co_u32 v19, s0, v17, v7
	global_load_dword v21, v[9:10], off
	v_add_co_ci_u32_e64 v20, null, v18, v8, s0
	global_load_sbyte v19, v[19:20], off
	s_waitcnt vmcnt(1)
	v_subrev_nc_u32_e32 v20, s11, v21
.LBB16_15:                              ;   in Loop: Header=BB16_13 Depth=1
	s_or_b32 exec_lo, exec_lo, s1
	ds_write_b32 v2, v20
	s_waitcnt vmcnt(0)
	ds_write_b32 v16, v19
	s_waitcnt lgkmcnt(0)
	s_barrier
	buffer_gl0_inv
	s_and_saveexec_b32 s1, vcc_lo
	s_cbranch_execz .LBB16_12
; %bb.16:                               ;   in Loop: Header=BB16_13 Depth=1
	ds_read_b128 v[19:22], v14
	ds_read_b128 v[23:26], v14 offset:16
	s_waitcnt lgkmcnt(1)
	v_ashrrev_i32_e32 v28, 31, v19
	v_ashrrev_i32_e32 v29, 31, v20
	v_add_co_u32 v27, s0, v0, v19
	v_ashrrev_i32_e32 v30, 31, v21
	v_add_co_ci_u32_e64 v28, null, v1, v28, s0
	v_add_co_u32 v19, s0, v0, v20
	v_ashrrev_i32_e32 v31, 31, v22
	v_add_co_ci_u32_e64 v20, null, v1, v29, s0
	v_add_co_u32 v29, s0, v0, v21
	v_add_co_ci_u32_e64 v30, null, v1, v30, s0
	v_add_co_u32 v21, s0, v0, v22
	s_waitcnt lgkmcnt(0)
	v_ashrrev_i32_e32 v32, 31, v23
	v_add_co_ci_u32_e64 v22, null, v1, v31, s0
	v_ashrrev_i32_e32 v31, 31, v24
	s_clause 0x3
	global_load_sbyte v27, v[27:28], off
	global_load_sbyte v28, v[19:20], off
	;; [unrolled: 1-line block ×4, first 2 shown]
	v_add_co_u32 v19, s0, v0, v23
	v_add_co_ci_u32_e64 v20, null, v1, v32, s0
	v_add_co_u32 v21, s0, v0, v24
	v_ashrrev_i32_e32 v24, 31, v25
	v_add_co_ci_u32_e64 v22, null, v1, v31, s0
	v_ashrrev_i32_e32 v31, 31, v26
	v_add_co_u32 v23, s0, v0, v25
	v_add_co_ci_u32_e64 v24, null, v1, v24, s0
	v_add_co_u32 v25, s0, v0, v26
	v_add_co_ci_u32_e64 v26, null, v1, v31, s0
	s_clause 0x3
	global_load_sbyte v31, v[19:20], off
	global_load_sbyte v32, v[21:22], off
	;; [unrolled: 1-line block ×4, first 2 shown]
	ds_read_b128 v[19:22], v15
	ds_read_b128 v[23:26], v15 offset:16
	s_waitcnt vmcnt(7) lgkmcnt(1)
	v_mul_lo_u32 v19, v19, v27
	s_waitcnt vmcnt(6)
	v_mul_lo_u32 v20, v20, v28
	s_waitcnt vmcnt(5)
	;; [unrolled: 2-line block ×3, first 2 shown]
	v_mul_lo_u32 v22, v22, v30
	v_add3_u32 v13, v19, v13, v20
	v_add3_u32 v13, v13, v21, v22
	s_waitcnt vmcnt(3) lgkmcnt(0)
	v_mul_lo_u32 v19, v23, v31
	s_waitcnt vmcnt(2)
	v_mul_lo_u32 v20, v24, v32
	s_waitcnt vmcnt(1)
	;; [unrolled: 2-line block ×3, first 2 shown]
	v_mul_lo_u32 v22, v26, v34
	v_add3_u32 v13, v13, v19, v20
	v_add3_u32 v13, v13, v21, v22
	s_branch .LBB16_12
.LBB16_17:
	s_or_b32 exec_lo, exec_lo, s3
.LBB16_18:
	s_or_b32 exec_lo, exec_lo, s2
	v_cmp_gt_i32_e32 vcc_lo, s30, v5
	s_and_b32 exec_lo, exec_lo, vcc_lo
	s_cbranch_execz .LBB16_25
; %bb.19:
	s_clause 0x1
	s_load_dwordx2 s[12:13], s[4:5], 0x70
	s_load_dwordx4 s[0:3], s[4:5], 0x60
	v_mul_lo_u32 v0, v13, s28
	s_cmp_lg_u32 s10, 1
	s_cselect_b32 s7, -1, 0
	s_cmp_lg_u32 s9, 0
	s_waitcnt lgkmcnt(0)
	s_mul_i32 s10, s12, s6
	s_mul_hi_u32 s11, s12, s8
	s_mul_i32 s6, s13, s8
	s_mul_i32 s4, s12, s8
	s_cbranch_scc0 .LBB16_26
; %bb.20:
	s_add_i32 s5, s11, s10
	s_and_b32 vcc_lo, exec_lo, s7
	s_add_i32 s5, s5, s6
	s_mov_b32 s8, -1
	s_cbranch_vccz .LBB16_22
; %bb.21:
	v_mad_u64_u32 v[1:2], null, s2, v11, 0
	s_lshl_b64 s[12:13], s[4:5], 2
	s_mov_b32 s8, 0
	v_mad_u64_u32 v[2:3], null, s3, v11, v[2:3]
	v_lshlrev_b64 v[3:4], 2, v[5:6]
	v_lshlrev_b64 v[1:2], 2, v[1:2]
	v_add_co_u32 v1, vcc_lo, s0, v1
	v_add_co_ci_u32_e64 v2, null, s1, v2, vcc_lo
	v_add_co_u32 v1, vcc_lo, v1, v3
	v_add_co_ci_u32_e64 v2, null, v2, v4, vcc_lo
	;; [unrolled: 2-line block ×3, first 2 shown]
	global_load_dword v3, v[1:2], off
	s_waitcnt vmcnt(0)
	v_mad_u64_u32 v[3:4], null, v3, s9, v[0:1]
	global_store_dword v[1:2], v3, off
.LBB16_22:
	s_andn2_b32 vcc_lo, exec_lo, s8
	s_cbranch_vccnz .LBB16_24
; %bb.23:
	v_mul_lo_u32 v3, s3, v5
	v_mul_lo_u32 v4, s2, v6
	v_mad_u64_u32 v[1:2], null, s2, v5, 0
	s_lshl_b64 s[12:13], s[4:5], 2
	v_add3_u32 v2, v2, v4, v3
	v_lshlrev_b32_e32 v3, 2, v11
	v_lshlrev_b64 v[1:2], 2, v[1:2]
	v_add_co_u32 v1, vcc_lo, s0, v1
	v_add_co_ci_u32_e64 v2, null, s1, v2, vcc_lo
	v_add_co_u32 v1, vcc_lo, v1, v3
	v_add_co_ci_u32_e64 v2, null, 0, v2, vcc_lo
	;; [unrolled: 2-line block ×3, first 2 shown]
	global_load_dword v3, v[1:2], off
	s_waitcnt vmcnt(0)
	v_mad_u64_u32 v[3:4], null, v3, s9, v[0:1]
	global_store_dword v[1:2], v3, off
.LBB16_24:
	s_cbranch_execz .LBB16_27
.LBB16_25:
	s_endpgm
.LBB16_26:
.LBB16_27:
	s_add_i32 s5, s11, s10
	s_and_b32 vcc_lo, exec_lo, s7
	s_add_i32 s5, s5, s6
	s_mov_b32 s6, -1
	s_cbranch_vccz .LBB16_29
; %bb.28:
	v_mad_u64_u32 v[1:2], null, s2, v11, 0
	s_lshl_b64 s[6:7], s[4:5], 2
	v_mad_u64_u32 v[2:3], null, s3, v11, v[2:3]
	v_lshlrev_b64 v[3:4], 2, v[5:6]
	v_lshlrev_b64 v[1:2], 2, v[1:2]
	v_add_co_u32 v1, vcc_lo, s0, v1
	v_add_co_ci_u32_e64 v2, null, s1, v2, vcc_lo
	v_add_co_u32 v1, vcc_lo, v1, v3
	v_add_co_ci_u32_e64 v2, null, v2, v4, vcc_lo
	;; [unrolled: 2-line block ×3, first 2 shown]
	s_mov_b32 s6, 0
	global_store_dword v[1:2], v0, off
.LBB16_29:
	s_andn2_b32 vcc_lo, exec_lo, s6
	s_cbranch_vccnz .LBB16_25
; %bb.30:
	v_mul_lo_u32 v3, s3, v5
	v_mul_lo_u32 v4, s2, v6
	v_mad_u64_u32 v[1:2], null, s2, v5, 0
	v_add3_u32 v2, v2, v4, v3
	v_lshlrev_b32_e32 v3, 2, v11
	v_lshlrev_b64 v[1:2], 2, v[1:2]
	v_add_co_u32 v1, vcc_lo, s0, v1
	v_add_co_ci_u32_e64 v2, null, s1, v2, vcc_lo
	s_lshl_b64 s[0:1], s[4:5], 2
	v_add_co_u32 v1, vcc_lo, v1, v3
	v_add_co_ci_u32_e64 v2, null, 0, v2, vcc_lo
	v_add_co_u32 v1, vcc_lo, v1, s0
	v_add_co_ci_u32_e64 v2, null, s1, v2, vcc_lo
	global_store_dword v[1:2], v0, off
	s_endpgm
	.section	.rodata,"a",@progbits
	.p2align	6, 0x0
	.amdhsa_kernel _ZN9rocsparse31csrmmnn_row_split_shared_kernelILj256ELj8EiliaaiEEvNS_24const_host_device_scalarIT1_EES3_bbbT3_S4_llPKT2_PKS4_PKT4_PKT5_llPT6_ll16rocsparse_order_21rocsparse_index_base_
		.amdhsa_group_segment_fixed_size 2048
		.amdhsa_private_segment_fixed_size 0
		.amdhsa_kernarg_size 128
		.amdhsa_user_sgpr_count 6
		.amdhsa_user_sgpr_private_segment_buffer 1
		.amdhsa_user_sgpr_dispatch_ptr 0
		.amdhsa_user_sgpr_queue_ptr 0
		.amdhsa_user_sgpr_kernarg_segment_ptr 1
		.amdhsa_user_sgpr_dispatch_id 0
		.amdhsa_user_sgpr_flat_scratch_init 0
		.amdhsa_user_sgpr_private_segment_size 0
		.amdhsa_wavefront_size32 1
		.amdhsa_uses_dynamic_stack 0
		.amdhsa_system_sgpr_private_segment_wavefront_offset 0
		.amdhsa_system_sgpr_workgroup_id_x 1
		.amdhsa_system_sgpr_workgroup_id_y 1
		.amdhsa_system_sgpr_workgroup_id_z 1
		.amdhsa_system_sgpr_workgroup_info 0
		.amdhsa_system_vgpr_workitem_id 0
		.amdhsa_next_free_vgpr 35
		.amdhsa_next_free_sgpr 32
		.amdhsa_reserve_vcc 1
		.amdhsa_reserve_flat_scratch 0
		.amdhsa_float_round_mode_32 0
		.amdhsa_float_round_mode_16_64 0
		.amdhsa_float_denorm_mode_32 3
		.amdhsa_float_denorm_mode_16_64 3
		.amdhsa_dx10_clamp 1
		.amdhsa_ieee_mode 1
		.amdhsa_fp16_overflow 0
		.amdhsa_workgroup_processor_mode 1
		.amdhsa_memory_ordered 1
		.amdhsa_forward_progress 1
		.amdhsa_shared_vgpr_count 0
		.amdhsa_exception_fp_ieee_invalid_op 0
		.amdhsa_exception_fp_denorm_src 0
		.amdhsa_exception_fp_ieee_div_zero 0
		.amdhsa_exception_fp_ieee_overflow 0
		.amdhsa_exception_fp_ieee_underflow 0
		.amdhsa_exception_fp_ieee_inexact 0
		.amdhsa_exception_int_div_zero 0
	.end_amdhsa_kernel
	.section	.text._ZN9rocsparse31csrmmnn_row_split_shared_kernelILj256ELj8EiliaaiEEvNS_24const_host_device_scalarIT1_EES3_bbbT3_S4_llPKT2_PKS4_PKT4_PKT5_llPT6_ll16rocsparse_order_21rocsparse_index_base_,"axG",@progbits,_ZN9rocsparse31csrmmnn_row_split_shared_kernelILj256ELj8EiliaaiEEvNS_24const_host_device_scalarIT1_EES3_bbbT3_S4_llPKT2_PKS4_PKT4_PKT5_llPT6_ll16rocsparse_order_21rocsparse_index_base_,comdat
.Lfunc_end16:
	.size	_ZN9rocsparse31csrmmnn_row_split_shared_kernelILj256ELj8EiliaaiEEvNS_24const_host_device_scalarIT1_EES3_bbbT3_S4_llPKT2_PKS4_PKT4_PKT5_llPT6_ll16rocsparse_order_21rocsparse_index_base_, .Lfunc_end16-_ZN9rocsparse31csrmmnn_row_split_shared_kernelILj256ELj8EiliaaiEEvNS_24const_host_device_scalarIT1_EES3_bbbT3_S4_llPKT2_PKS4_PKT4_PKT5_llPT6_ll16rocsparse_order_21rocsparse_index_base_
                                        ; -- End function
	.set _ZN9rocsparse31csrmmnn_row_split_shared_kernelILj256ELj8EiliaaiEEvNS_24const_host_device_scalarIT1_EES3_bbbT3_S4_llPKT2_PKS4_PKT4_PKT5_llPT6_ll16rocsparse_order_21rocsparse_index_base_.num_vgpr, 35
	.set _ZN9rocsparse31csrmmnn_row_split_shared_kernelILj256ELj8EiliaaiEEvNS_24const_host_device_scalarIT1_EES3_bbbT3_S4_llPKT2_PKS4_PKT4_PKT5_llPT6_ll16rocsparse_order_21rocsparse_index_base_.num_agpr, 0
	.set _ZN9rocsparse31csrmmnn_row_split_shared_kernelILj256ELj8EiliaaiEEvNS_24const_host_device_scalarIT1_EES3_bbbT3_S4_llPKT2_PKS4_PKT4_PKT5_llPT6_ll16rocsparse_order_21rocsparse_index_base_.numbered_sgpr, 32
	.set _ZN9rocsparse31csrmmnn_row_split_shared_kernelILj256ELj8EiliaaiEEvNS_24const_host_device_scalarIT1_EES3_bbbT3_S4_llPKT2_PKS4_PKT4_PKT5_llPT6_ll16rocsparse_order_21rocsparse_index_base_.num_named_barrier, 0
	.set _ZN9rocsparse31csrmmnn_row_split_shared_kernelILj256ELj8EiliaaiEEvNS_24const_host_device_scalarIT1_EES3_bbbT3_S4_llPKT2_PKS4_PKT4_PKT5_llPT6_ll16rocsparse_order_21rocsparse_index_base_.private_seg_size, 0
	.set _ZN9rocsparse31csrmmnn_row_split_shared_kernelILj256ELj8EiliaaiEEvNS_24const_host_device_scalarIT1_EES3_bbbT3_S4_llPKT2_PKS4_PKT4_PKT5_llPT6_ll16rocsparse_order_21rocsparse_index_base_.uses_vcc, 1
	.set _ZN9rocsparse31csrmmnn_row_split_shared_kernelILj256ELj8EiliaaiEEvNS_24const_host_device_scalarIT1_EES3_bbbT3_S4_llPKT2_PKS4_PKT4_PKT5_llPT6_ll16rocsparse_order_21rocsparse_index_base_.uses_flat_scratch, 0
	.set _ZN9rocsparse31csrmmnn_row_split_shared_kernelILj256ELj8EiliaaiEEvNS_24const_host_device_scalarIT1_EES3_bbbT3_S4_llPKT2_PKS4_PKT4_PKT5_llPT6_ll16rocsparse_order_21rocsparse_index_base_.has_dyn_sized_stack, 0
	.set _ZN9rocsparse31csrmmnn_row_split_shared_kernelILj256ELj8EiliaaiEEvNS_24const_host_device_scalarIT1_EES3_bbbT3_S4_llPKT2_PKS4_PKT4_PKT5_llPT6_ll16rocsparse_order_21rocsparse_index_base_.has_recursion, 0
	.set _ZN9rocsparse31csrmmnn_row_split_shared_kernelILj256ELj8EiliaaiEEvNS_24const_host_device_scalarIT1_EES3_bbbT3_S4_llPKT2_PKS4_PKT4_PKT5_llPT6_ll16rocsparse_order_21rocsparse_index_base_.has_indirect_call, 0
	.section	.AMDGPU.csdata,"",@progbits
; Kernel info:
; codeLenInByte = 1720
; TotalNumSgprs: 34
; NumVgprs: 35
; ScratchSize: 0
; MemoryBound: 0
; FloatMode: 240
; IeeeMode: 1
; LDSByteSize: 2048 bytes/workgroup (compile time only)
; SGPRBlocks: 0
; VGPRBlocks: 4
; NumSGPRsForWavesPerEU: 34
; NumVGPRsForWavesPerEU: 35
; Occupancy: 16
; WaveLimiterHint : 1
; COMPUTE_PGM_RSRC2:SCRATCH_EN: 0
; COMPUTE_PGM_RSRC2:USER_SGPR: 6
; COMPUTE_PGM_RSRC2:TRAP_HANDLER: 0
; COMPUTE_PGM_RSRC2:TGID_X_EN: 1
; COMPUTE_PGM_RSRC2:TGID_Y_EN: 1
; COMPUTE_PGM_RSRC2:TGID_Z_EN: 1
; COMPUTE_PGM_RSRC2:TIDIG_COMP_CNT: 0
	.section	.text._ZN9rocsparse31csrmmnn_row_split_shared_kernelILj256ELj8EillaaiEEvNS_24const_host_device_scalarIT1_EES3_bbbT3_S4_llPKT2_PKS4_PKT4_PKT5_llPT6_ll16rocsparse_order_21rocsparse_index_base_,"axG",@progbits,_ZN9rocsparse31csrmmnn_row_split_shared_kernelILj256ELj8EillaaiEEvNS_24const_host_device_scalarIT1_EES3_bbbT3_S4_llPKT2_PKS4_PKT4_PKT5_llPT6_ll16rocsparse_order_21rocsparse_index_base_,comdat
	.protected	_ZN9rocsparse31csrmmnn_row_split_shared_kernelILj256ELj8EillaaiEEvNS_24const_host_device_scalarIT1_EES3_bbbT3_S4_llPKT2_PKS4_PKT4_PKT5_llPT6_ll16rocsparse_order_21rocsparse_index_base_ ; -- Begin function _ZN9rocsparse31csrmmnn_row_split_shared_kernelILj256ELj8EillaaiEEvNS_24const_host_device_scalarIT1_EES3_bbbT3_S4_llPKT2_PKS4_PKT4_PKT5_llPT6_ll16rocsparse_order_21rocsparse_index_base_
	.globl	_ZN9rocsparse31csrmmnn_row_split_shared_kernelILj256ELj8EillaaiEEvNS_24const_host_device_scalarIT1_EES3_bbbT3_S4_llPKT2_PKS4_PKT4_PKT5_llPT6_ll16rocsparse_order_21rocsparse_index_base_
	.p2align	8
	.type	_ZN9rocsparse31csrmmnn_row_split_shared_kernelILj256ELj8EillaaiEEvNS_24const_host_device_scalarIT1_EES3_bbbT3_S4_llPKT2_PKS4_PKT4_PKT5_llPT6_ll16rocsparse_order_21rocsparse_index_base_,@function
_ZN9rocsparse31csrmmnn_row_split_shared_kernelILj256ELj8EillaaiEEvNS_24const_host_device_scalarIT1_EES3_bbbT3_S4_llPKT2_PKS4_PKT4_PKT5_llPT6_ll16rocsparse_order_21rocsparse_index_base_: ; @_ZN9rocsparse31csrmmnn_row_split_shared_kernelILj256ELj8EillaaiEEvNS_24const_host_device_scalarIT1_EES3_bbbT3_S4_llPKT2_PKS4_PKT4_PKT5_llPT6_ll16rocsparse_order_21rocsparse_index_base_
; %bb.0:
	s_clause 0x1
	s_load_dword s9, s[4:5], 0x10
	s_load_dwordx4 s[0:3], s[4:5], 0x0
	s_mov_b32 s11, -1
	s_waitcnt lgkmcnt(0)
	s_bitcmp1_b32 s9, 0
	s_cselect_b32 s9, -1, 0
	s_xor_b32 s10, s9, -1
                                        ; implicit-def: $sgpr9
	s_and_b32 vcc_lo, exec_lo, s10
	s_cbranch_vccnz .LBB17_4
; %bb.1:
	s_andn2_b32 vcc_lo, exec_lo, s11
	s_cbranch_vccz .LBB17_5
.LBB17_2:
	s_and_b32 vcc_lo, exec_lo, s10
	s_cbranch_vccz .LBB17_6
.LBB17_3:
	s_load_dword s3, s[2:3], 0x0
	s_cbranch_execz .LBB17_7
	s_branch .LBB17_8
.LBB17_4:
	s_load_dword s9, s[0:1], 0x0
	s_cbranch_execnz .LBB17_2
.LBB17_5:
	s_waitcnt lgkmcnt(0)
	s_mov_b32 s9, s0
	s_and_b32 vcc_lo, exec_lo, s10
	s_cbranch_vccnz .LBB17_3
.LBB17_6:
                                        ; implicit-def: $sgpr3
.LBB17_7:
	s_waitcnt lgkmcnt(0)
	s_mov_b32 s3, s2
.LBB17_8:
	s_waitcnt lgkmcnt(0)
	s_cmp_eq_u32 s9, 0
	s_cselect_b32 s0, -1, 0
	s_cmp_eq_u32 s3, 1
	s_cselect_b32 s1, -1, 0
	s_and_b32 s0, s0, s1
	s_and_b32 vcc_lo, exec_lo, s0
	s_cbranch_vccnz .LBB17_25
; %bb.9:
	s_load_dwordx16 s[12:27], s[4:5], 0x18
	v_lshl_or_b32 v1, s6, 8, v0
	v_mov_b32_e32 v6, 0
	s_mov_b32 s0, exec_lo
	v_lshrrev_b32_e32 v5, 3, v1
	s_waitcnt lgkmcnt(0)
	v_cmpx_gt_i64_e64 s[12:13], v[5:6]
	s_cbranch_execz .LBB17_25
; %bb.10:
	s_mul_i32 s1, s17, s8
	s_mul_hi_u32 s2, s16, s8
	s_mul_i32 s0, s16, s8
	s_add_i32 s1, s2, s1
	v_lshlrev_b32_e32 v1, 3, v5
	s_lshl_b64 s[0:1], s[0:1], 3
	v_and_b32_e32 v14, 7, v0
	s_add_u32 s0, s20, s0
	s_addc_u32 s1, s21, s1
	v_mov_b32_e32 v8, v6
	global_load_dwordx4 v[1:4], v1, s[0:1]
	s_clause 0x1
	s_load_dwordx8 s[36:43], s[4:5], 0x58
	s_load_dwordx4 s[28:31], s[4:5], 0x78
	v_lshl_or_b32 v7, s7, 3, v14
	s_mov_b32 s4, 0
	s_mov_b32 s2, exec_lo
	s_waitcnt vmcnt(0)
	v_cmpx_lt_i64_e64 v[1:2], v[3:4]
	s_cbranch_execz .LBB17_18
; %bb.11:
	s_waitcnt lgkmcnt(0)
	v_mad_u64_u32 v[9:10], null, s36, v7, s[26:27]
	v_sub_co_u32 v3, vcc_lo, v3, s31
	v_subrev_co_ci_u32_e64 v4, null, 0, v4, vcc_lo
	v_lshrrev_b32_e32 v13, 3, v0
	v_sub_co_u32 v0, vcc_lo, v1, s31
	v_mov_b32_e32 v6, v10
	s_mul_i32 s1, s19, s8
	s_mul_hi_u32 s5, s18, s8
	s_mul_i32 s6, s18, s8
	s_add_i32 s5, s5, s1
	v_mad_u64_u32 v[10:11], null, s37, v7, v[6:7]
	v_mad_u64_u32 v[11:12], null, s18, s8, v[1:2]
	v_subrev_co_ci_u32_e64 v1, null, 0, v2, vcc_lo
	v_lshl_or_b32 v15, v13, 5, 0x800
	v_mov_b32_e32 v6, 0
	v_mad_u64_u32 v[9:10], null, s38, s8, v[9:10]
	v_add_nc_u32_e32 v2, s1, v12
	v_add_co_u32 v11, vcc_lo, v11, v14
	s_add_u32 s1, s24, s6
	v_lshl_or_b32 v17, v14, 2, v15
	v_add_co_ci_u32_e64 v2, null, 0, v2, vcc_lo
	v_sub_co_u32 v11, s0, v11, s31
	v_cmp_gt_i64_e32 vcc_lo, s[14:15], v[7:8]
	v_subrev_co_ci_u32_e64 v12, null, 0, v2, s0
	v_lshlrev_b32_e32 v2, 6, v13
	v_lshlrev_b64 v[11:12], 3, v[11:12]
	v_lshl_or_b32 v16, v14, 3, v2
	v_mad_u64_u32 v[18:19], null, s39, s8, v[10:11]
	v_add_co_u32 v10, s0, s22, v11
	v_add_co_ci_u32_e64 v11, null, s23, v12, s0
	s_addc_u32 s0, s25, s5
	v_add_co_u32 v19, s1, s1, v14
	v_add_co_ci_u32_e64 v20, null, s0, 0, s1
	s_mov_b32 s5, s31
	s_branch .LBB17_13
.LBB17_12:                              ;   in Loop: Header=BB17_13 Depth=1
	s_or_b32 exec_lo, exec_lo, s1
	v_add_co_u32 v0, s0, v0, 8
	v_add_co_ci_u32_e64 v1, null, 0, v1, s0
	v_add_co_u32 v10, s1, v10, 64
	v_add_co_ci_u32_e64 v11, null, 0, v11, s1
	v_cmp_ge_i64_e64 s0, v[0:1], v[3:4]
	s_or_b32 s4, s0, s4
	s_andn2_b32 exec_lo, exec_lo, s4
	s_cbranch_execz .LBB17_17
.LBB17_13:                              ; =>This Inner Loop Header: Depth=1
	v_add_co_u32 v12, s0, v14, v0
	v_add_co_ci_u32_e64 v13, null, 0, v1, s0
	v_mov_b32_e32 v21, 0
	s_barrier
	v_cmp_lt_i64_e64 s0, v[12:13], v[3:4]
	v_mov_b32_e32 v12, 0
	v_mov_b32_e32 v13, 0
	buffer_gl0_inv
	s_and_saveexec_b32 s1, s0
	s_cbranch_execz .LBB17_15
; %bb.14:                               ;   in Loop: Header=BB17_13 Depth=1
	global_load_dwordx2 v[12:13], v[10:11], off
	v_add_co_u32 v21, s0, v19, v0
	v_add_co_ci_u32_e64 v22, null, v20, v1, s0
	global_load_sbyte v21, v[21:22], off
	s_waitcnt vmcnt(1)
	v_sub_co_u32 v12, s0, v12, s5
	v_subrev_co_ci_u32_e64 v13, null, 0, v13, s0
.LBB17_15:                              ;   in Loop: Header=BB17_13 Depth=1
	s_or_b32 exec_lo, exec_lo, s1
	ds_write_b64 v16, v[12:13]
	s_waitcnt vmcnt(0)
	ds_write_b32 v17, v21
	s_waitcnt lgkmcnt(0)
	s_barrier
	buffer_gl0_inv
	s_and_saveexec_b32 s1, vcc_lo
	s_cbranch_execz .LBB17_12
; %bb.16:                               ;   in Loop: Header=BB17_13 Depth=1
	ds_read_b128 v[21:24], v2
	ds_read_b128 v[25:28], v2 offset:16
	ds_read_b128 v[29:32], v2 offset:32
	;; [unrolled: 1-line block ×3, first 2 shown]
	s_waitcnt lgkmcnt(3)
	v_add_co_u32 v12, s0, v9, v21
	v_add_co_ci_u32_e64 v13, null, v18, v22, s0
	v_add_co_u32 v21, s0, v9, v23
	v_add_co_ci_u32_e64 v22, null, v18, v24, s0
	s_waitcnt lgkmcnt(2)
	v_add_co_u32 v23, s0, v9, v25
	v_add_co_ci_u32_e64 v24, null, v18, v26, s0
	v_add_co_u32 v25, s0, v9, v27
	v_add_co_ci_u32_e64 v26, null, v18, v28, s0
	s_clause 0x3
	global_load_sbyte v37, v[12:13], off
	global_load_sbyte v38, v[21:22], off
	global_load_sbyte v39, v[23:24], off
	global_load_sbyte v40, v[25:26], off
	s_waitcnt lgkmcnt(1)
	v_add_co_u32 v12, s0, v9, v29
	v_add_co_ci_u32_e64 v13, null, v18, v30, s0
	v_add_co_u32 v21, s0, v9, v31
	v_add_co_ci_u32_e64 v22, null, v18, v32, s0
	s_waitcnt lgkmcnt(0)
	v_add_co_u32 v23, s0, v9, v33
	v_add_co_ci_u32_e64 v24, null, v18, v34, s0
	v_add_co_u32 v25, s0, v9, v35
	v_add_co_ci_u32_e64 v26, null, v18, v36, s0
	s_clause 0x3
	global_load_sbyte v12, v[12:13], off
	global_load_sbyte v13, v[21:22], off
	;; [unrolled: 1-line block ×4, first 2 shown]
	ds_read_b128 v[21:24], v15
	ds_read_b128 v[25:28], v15 offset:16
	s_waitcnt vmcnt(7) lgkmcnt(1)
	v_mul_lo_u32 v21, v21, v37
	s_waitcnt vmcnt(6)
	v_mul_lo_u32 v22, v22, v38
	s_waitcnt vmcnt(5)
	;; [unrolled: 2-line block ×3, first 2 shown]
	v_mul_lo_u32 v24, v24, v40
	v_add3_u32 v6, v21, v6, v22
	v_add3_u32 v6, v6, v23, v24
	s_waitcnt vmcnt(3) lgkmcnt(0)
	v_mul_lo_u32 v12, v25, v12
	s_waitcnt vmcnt(2)
	v_mul_lo_u32 v13, v26, v13
	s_waitcnt vmcnt(1)
	;; [unrolled: 2-line block ×3, first 2 shown]
	v_mul_lo_u32 v22, v28, v30
	v_add3_u32 v6, v6, v12, v13
	v_add3_u32 v6, v6, v21, v22
	s_branch .LBB17_12
.LBB17_17:
	s_or_b32 exec_lo, exec_lo, s4
.LBB17_18:
	s_or_b32 exec_lo, exec_lo, s2
	v_cmp_gt_i64_e32 vcc_lo, s[14:15], v[7:8]
	s_and_b32 exec_lo, exec_lo, vcc_lo
	s_cbranch_execz .LBB17_25
; %bb.19:
	v_mul_lo_u32 v0, v6, s9
	s_waitcnt lgkmcnt(0)
	s_cmp_lg_u32 s30, 1
	s_mul_i32 s4, s29, s8
	s_cselect_b32 s2, -1, 0
	s_cmp_lg_u32 s3, 0
	s_mul_hi_u32 s5, s28, s8
	s_mul_i32 s0, s28, s8
	s_cbranch_scc0 .LBB17_26
; %bb.20:
	s_add_i32 s1, s5, s4
	s_and_b32 vcc_lo, exec_lo, s2
	s_mov_b32 s6, -1
	s_cbranch_vccz .LBB17_22
; %bb.21:
	v_mad_u64_u32 v[1:2], null, s42, v5, 0
	s_lshl_b64 s[6:7], s[0:1], 2
	v_mad_u64_u32 v[2:3], null, s43, v5, v[2:3]
	v_lshlrev_b64 v[3:4], 2, v[7:8]
	v_lshlrev_b64 v[1:2], 2, v[1:2]
	v_add_co_u32 v1, vcc_lo, s40, v1
	v_add_co_ci_u32_e64 v2, null, s41, v2, vcc_lo
	v_add_co_u32 v1, vcc_lo, v1, v3
	v_add_co_ci_u32_e64 v2, null, v2, v4, vcc_lo
	;; [unrolled: 2-line block ×3, first 2 shown]
	s_mov_b32 s6, 0
	global_load_dword v3, v[1:2], off
	s_waitcnt vmcnt(0)
	v_mad_u64_u32 v[3:4], null, v3, s3, v[0:1]
	global_store_dword v[1:2], v3, off
.LBB17_22:
	s_andn2_b32 vcc_lo, exec_lo, s6
	s_cbranch_vccnz .LBB17_24
; %bb.23:
	v_mad_u64_u32 v[1:2], null, s42, v7, 0
	s_lshl_b64 s[6:7], s[0:1], 2
	v_mad_u64_u32 v[2:3], null, s43, v7, v[2:3]
	v_lshlrev_b32_e32 v3, 2, v5
	v_lshlrev_b64 v[1:2], 2, v[1:2]
	v_add_co_u32 v1, vcc_lo, s40, v1
	v_add_co_ci_u32_e64 v2, null, s41, v2, vcc_lo
	v_add_co_u32 v1, vcc_lo, v1, v3
	v_add_co_ci_u32_e64 v2, null, 0, v2, vcc_lo
	;; [unrolled: 2-line block ×3, first 2 shown]
	global_load_dword v3, v[1:2], off
	s_waitcnt vmcnt(0)
	v_mad_u64_u32 v[3:4], null, v3, s3, v[0:1]
	global_store_dword v[1:2], v3, off
.LBB17_24:
	s_cbranch_execz .LBB17_27
.LBB17_25:
	s_endpgm
.LBB17_26:
.LBB17_27:
	s_add_i32 s1, s5, s4
	s_and_b32 vcc_lo, exec_lo, s2
	s_mov_b32 s2, -1
	s_cbranch_vccz .LBB17_29
; %bb.28:
	v_mad_u64_u32 v[1:2], null, s42, v5, 0
	s_lshl_b64 s[2:3], s[0:1], 2
	v_mad_u64_u32 v[2:3], null, s43, v5, v[2:3]
	v_lshlrev_b64 v[3:4], 2, v[7:8]
	v_lshlrev_b64 v[1:2], 2, v[1:2]
	v_add_co_u32 v1, vcc_lo, s40, v1
	v_add_co_ci_u32_e64 v2, null, s41, v2, vcc_lo
	v_add_co_u32 v1, vcc_lo, v1, v3
	v_add_co_ci_u32_e64 v2, null, v2, v4, vcc_lo
	;; [unrolled: 2-line block ×3, first 2 shown]
	s_mov_b32 s2, 0
	global_store_dword v[1:2], v0, off
.LBB17_29:
	s_andn2_b32 vcc_lo, exec_lo, s2
	s_cbranch_vccnz .LBB17_25
; %bb.30:
	v_mad_u64_u32 v[1:2], null, s42, v7, 0
	s_lshl_b64 s[0:1], s[0:1], 2
	v_mad_u64_u32 v[2:3], null, s43, v7, v[2:3]
	v_lshlrev_b32_e32 v3, 2, v5
	v_lshlrev_b64 v[1:2], 2, v[1:2]
	v_add_co_u32 v1, vcc_lo, s40, v1
	v_add_co_ci_u32_e64 v2, null, s41, v2, vcc_lo
	v_add_co_u32 v1, vcc_lo, v1, v3
	v_add_co_ci_u32_e64 v2, null, 0, v2, vcc_lo
	;; [unrolled: 2-line block ×3, first 2 shown]
	global_store_dword v[1:2], v0, off
	s_endpgm
	.section	.rodata,"a",@progbits
	.p2align	6, 0x0
	.amdhsa_kernel _ZN9rocsparse31csrmmnn_row_split_shared_kernelILj256ELj8EillaaiEEvNS_24const_host_device_scalarIT1_EES3_bbbT3_S4_llPKT2_PKS4_PKT4_PKT5_llPT6_ll16rocsparse_order_21rocsparse_index_base_
		.amdhsa_group_segment_fixed_size 3072
		.amdhsa_private_segment_fixed_size 0
		.amdhsa_kernarg_size 136
		.amdhsa_user_sgpr_count 6
		.amdhsa_user_sgpr_private_segment_buffer 1
		.amdhsa_user_sgpr_dispatch_ptr 0
		.amdhsa_user_sgpr_queue_ptr 0
		.amdhsa_user_sgpr_kernarg_segment_ptr 1
		.amdhsa_user_sgpr_dispatch_id 0
		.amdhsa_user_sgpr_flat_scratch_init 0
		.amdhsa_user_sgpr_private_segment_size 0
		.amdhsa_wavefront_size32 1
		.amdhsa_uses_dynamic_stack 0
		.amdhsa_system_sgpr_private_segment_wavefront_offset 0
		.amdhsa_system_sgpr_workgroup_id_x 1
		.amdhsa_system_sgpr_workgroup_id_y 1
		.amdhsa_system_sgpr_workgroup_id_z 1
		.amdhsa_system_sgpr_workgroup_info 0
		.amdhsa_system_vgpr_workitem_id 0
		.amdhsa_next_free_vgpr 41
		.amdhsa_next_free_sgpr 44
		.amdhsa_reserve_vcc 1
		.amdhsa_reserve_flat_scratch 0
		.amdhsa_float_round_mode_32 0
		.amdhsa_float_round_mode_16_64 0
		.amdhsa_float_denorm_mode_32 3
		.amdhsa_float_denorm_mode_16_64 3
		.amdhsa_dx10_clamp 1
		.amdhsa_ieee_mode 1
		.amdhsa_fp16_overflow 0
		.amdhsa_workgroup_processor_mode 1
		.amdhsa_memory_ordered 1
		.amdhsa_forward_progress 1
		.amdhsa_shared_vgpr_count 0
		.amdhsa_exception_fp_ieee_invalid_op 0
		.amdhsa_exception_fp_denorm_src 0
		.amdhsa_exception_fp_ieee_div_zero 0
		.amdhsa_exception_fp_ieee_overflow 0
		.amdhsa_exception_fp_ieee_underflow 0
		.amdhsa_exception_fp_ieee_inexact 0
		.amdhsa_exception_int_div_zero 0
	.end_amdhsa_kernel
	.section	.text._ZN9rocsparse31csrmmnn_row_split_shared_kernelILj256ELj8EillaaiEEvNS_24const_host_device_scalarIT1_EES3_bbbT3_S4_llPKT2_PKS4_PKT4_PKT5_llPT6_ll16rocsparse_order_21rocsparse_index_base_,"axG",@progbits,_ZN9rocsparse31csrmmnn_row_split_shared_kernelILj256ELj8EillaaiEEvNS_24const_host_device_scalarIT1_EES3_bbbT3_S4_llPKT2_PKS4_PKT4_PKT5_llPT6_ll16rocsparse_order_21rocsparse_index_base_,comdat
.Lfunc_end17:
	.size	_ZN9rocsparse31csrmmnn_row_split_shared_kernelILj256ELj8EillaaiEEvNS_24const_host_device_scalarIT1_EES3_bbbT3_S4_llPKT2_PKS4_PKT4_PKT5_llPT6_ll16rocsparse_order_21rocsparse_index_base_, .Lfunc_end17-_ZN9rocsparse31csrmmnn_row_split_shared_kernelILj256ELj8EillaaiEEvNS_24const_host_device_scalarIT1_EES3_bbbT3_S4_llPKT2_PKS4_PKT4_PKT5_llPT6_ll16rocsparse_order_21rocsparse_index_base_
                                        ; -- End function
	.set _ZN9rocsparse31csrmmnn_row_split_shared_kernelILj256ELj8EillaaiEEvNS_24const_host_device_scalarIT1_EES3_bbbT3_S4_llPKT2_PKS4_PKT4_PKT5_llPT6_ll16rocsparse_order_21rocsparse_index_base_.num_vgpr, 41
	.set _ZN9rocsparse31csrmmnn_row_split_shared_kernelILj256ELj8EillaaiEEvNS_24const_host_device_scalarIT1_EES3_bbbT3_S4_llPKT2_PKS4_PKT4_PKT5_llPT6_ll16rocsparse_order_21rocsparse_index_base_.num_agpr, 0
	.set _ZN9rocsparse31csrmmnn_row_split_shared_kernelILj256ELj8EillaaiEEvNS_24const_host_device_scalarIT1_EES3_bbbT3_S4_llPKT2_PKS4_PKT4_PKT5_llPT6_ll16rocsparse_order_21rocsparse_index_base_.numbered_sgpr, 44
	.set _ZN9rocsparse31csrmmnn_row_split_shared_kernelILj256ELj8EillaaiEEvNS_24const_host_device_scalarIT1_EES3_bbbT3_S4_llPKT2_PKS4_PKT4_PKT5_llPT6_ll16rocsparse_order_21rocsparse_index_base_.num_named_barrier, 0
	.set _ZN9rocsparse31csrmmnn_row_split_shared_kernelILj256ELj8EillaaiEEvNS_24const_host_device_scalarIT1_EES3_bbbT3_S4_llPKT2_PKS4_PKT4_PKT5_llPT6_ll16rocsparse_order_21rocsparse_index_base_.private_seg_size, 0
	.set _ZN9rocsparse31csrmmnn_row_split_shared_kernelILj256ELj8EillaaiEEvNS_24const_host_device_scalarIT1_EES3_bbbT3_S4_llPKT2_PKS4_PKT4_PKT5_llPT6_ll16rocsparse_order_21rocsparse_index_base_.uses_vcc, 1
	.set _ZN9rocsparse31csrmmnn_row_split_shared_kernelILj256ELj8EillaaiEEvNS_24const_host_device_scalarIT1_EES3_bbbT3_S4_llPKT2_PKS4_PKT4_PKT5_llPT6_ll16rocsparse_order_21rocsparse_index_base_.uses_flat_scratch, 0
	.set _ZN9rocsparse31csrmmnn_row_split_shared_kernelILj256ELj8EillaaiEEvNS_24const_host_device_scalarIT1_EES3_bbbT3_S4_llPKT2_PKS4_PKT4_PKT5_llPT6_ll16rocsparse_order_21rocsparse_index_base_.has_dyn_sized_stack, 0
	.set _ZN9rocsparse31csrmmnn_row_split_shared_kernelILj256ELj8EillaaiEEvNS_24const_host_device_scalarIT1_EES3_bbbT3_S4_llPKT2_PKS4_PKT4_PKT5_llPT6_ll16rocsparse_order_21rocsparse_index_base_.has_recursion, 0
	.set _ZN9rocsparse31csrmmnn_row_split_shared_kernelILj256ELj8EillaaiEEvNS_24const_host_device_scalarIT1_EES3_bbbT3_S4_llPKT2_PKS4_PKT4_PKT5_llPT6_ll16rocsparse_order_21rocsparse_index_base_.has_indirect_call, 0
	.section	.AMDGPU.csdata,"",@progbits
; Kernel info:
; codeLenInByte = 1660
; TotalNumSgprs: 46
; NumVgprs: 41
; ScratchSize: 0
; MemoryBound: 0
; FloatMode: 240
; IeeeMode: 1
; LDSByteSize: 3072 bytes/workgroup (compile time only)
; SGPRBlocks: 0
; VGPRBlocks: 5
; NumSGPRsForWavesPerEU: 46
; NumVGPRsForWavesPerEU: 41
; Occupancy: 16
; WaveLimiterHint : 0
; COMPUTE_PGM_RSRC2:SCRATCH_EN: 0
; COMPUTE_PGM_RSRC2:USER_SGPR: 6
; COMPUTE_PGM_RSRC2:TRAP_HANDLER: 0
; COMPUTE_PGM_RSRC2:TGID_X_EN: 1
; COMPUTE_PGM_RSRC2:TGID_Y_EN: 1
; COMPUTE_PGM_RSRC2:TGID_Z_EN: 1
; COMPUTE_PGM_RSRC2:TIDIG_COMP_CNT: 0
	.section	.text._ZN9rocsparse31csrmmnn_row_split_shared_kernelILj256ELj8EfiiaafEEvNS_24const_host_device_scalarIT1_EES3_bbbT3_S4_llPKT2_PKS4_PKT4_PKT5_llPT6_ll16rocsparse_order_21rocsparse_index_base_,"axG",@progbits,_ZN9rocsparse31csrmmnn_row_split_shared_kernelILj256ELj8EfiiaafEEvNS_24const_host_device_scalarIT1_EES3_bbbT3_S4_llPKT2_PKS4_PKT4_PKT5_llPT6_ll16rocsparse_order_21rocsparse_index_base_,comdat
	.protected	_ZN9rocsparse31csrmmnn_row_split_shared_kernelILj256ELj8EfiiaafEEvNS_24const_host_device_scalarIT1_EES3_bbbT3_S4_llPKT2_PKS4_PKT4_PKT5_llPT6_ll16rocsparse_order_21rocsparse_index_base_ ; -- Begin function _ZN9rocsparse31csrmmnn_row_split_shared_kernelILj256ELj8EfiiaafEEvNS_24const_host_device_scalarIT1_EES3_bbbT3_S4_llPKT2_PKS4_PKT4_PKT5_llPT6_ll16rocsparse_order_21rocsparse_index_base_
	.globl	_ZN9rocsparse31csrmmnn_row_split_shared_kernelILj256ELj8EfiiaafEEvNS_24const_host_device_scalarIT1_EES3_bbbT3_S4_llPKT2_PKS4_PKT4_PKT5_llPT6_ll16rocsparse_order_21rocsparse_index_base_
	.p2align	8
	.type	_ZN9rocsparse31csrmmnn_row_split_shared_kernelILj256ELj8EfiiaafEEvNS_24const_host_device_scalarIT1_EES3_bbbT3_S4_llPKT2_PKS4_PKT4_PKT5_llPT6_ll16rocsparse_order_21rocsparse_index_base_,@function
_ZN9rocsparse31csrmmnn_row_split_shared_kernelILj256ELj8EfiiaafEEvNS_24const_host_device_scalarIT1_EES3_bbbT3_S4_llPKT2_PKS4_PKT4_PKT5_llPT6_ll16rocsparse_order_21rocsparse_index_base_: ; @_ZN9rocsparse31csrmmnn_row_split_shared_kernelILj256ELj8EfiiaafEEvNS_24const_host_device_scalarIT1_EES3_bbbT3_S4_llPKT2_PKS4_PKT4_PKT5_llPT6_ll16rocsparse_order_21rocsparse_index_base_
; %bb.0:
	s_load_dwordx8 s[36:43], s[4:5], 0x0
	s_waitcnt lgkmcnt(0)
	s_bitcmp1_b32 s40, 0
	s_cselect_b32 s0, -1, 0
	s_and_b32 vcc_lo, exec_lo, s0
	s_xor_b32 s0, s0, -1
	s_cbranch_vccnz .LBB18_2
; %bb.1:
	s_load_dword s36, s[36:37], 0x0
.LBB18_2:
	s_andn2_b32 vcc_lo, exec_lo, s0
	s_cbranch_vccnz .LBB18_4
; %bb.3:
	s_load_dword s38, s[38:39], 0x0
.LBB18_4:
	s_waitcnt lgkmcnt(0)
	v_cmp_eq_f32_e64 s0, s36, 0
	v_cmp_eq_f32_e64 s1, s38, 1.0
	s_and_b32 s0, s0, s1
	s_and_b32 vcc_lo, exec_lo, s0
	s_cbranch_vccnz .LBB18_21
; %bb.5:
	v_lshl_or_b32 v1, s6, 8, v0
	s_mov_b32 s0, exec_lo
	v_lshrrev_b32_e32 v6, 3, v1
	v_cmpx_gt_i32_e64 s41, v6
	s_cbranch_execz .LBB18_21
; %bb.6:
	s_load_dwordx16 s[12:27], s[4:5], 0x20
	s_ashr_i32 s6, s8, 31
	v_lshlrev_b32_e32 v5, 2, v6
	s_load_dwordx2 s[10:11], s[4:5], 0x78
	v_and_b32_e32 v7, 7, v0
	v_mov_b32_e32 v8, 0
	v_lshl_or_b32 v1, s7, 3, v7
	v_ashrrev_i32_e32 v2, 31, v1
	s_waitcnt lgkmcnt(0)
	s_mul_hi_u32 s0, s12, s8
	s_mul_i32 s1, s12, s6
	s_mul_i32 s2, s13, s8
	s_add_i32 s1, s0, s1
	s_mul_i32 s0, s12, s8
	s_add_i32 s1, s1, s2
	s_lshl_b64 s[0:1], s[0:1], 2
	s_add_u32 s0, s16, s0
	s_addc_u32 s1, s17, s1
	global_load_dwordx2 v[3:4], v5, s[0:1]
	s_mov_b32 s1, exec_lo
	s_waitcnt vmcnt(0)
	v_cmpx_lt_i32_e64 v3, v4
	s_cbranch_execz .LBB18_14
; %bb.7:
	v_mul_lo_u32 v8, s24, v2
	v_mul_lo_u32 v11, s25, v1
	v_mad_u64_u32 v[13:14], null, s24, v1, s[22:23]
	v_lshlrev_b32_e32 v0, 2, v0
	v_subrev_nc_u32_e32 v9, s11, v4
	v_subrev_nc_u32_e32 v10, s11, v3
	v_lshlrev_b32_e32 v15, 2, v7
	s_mul_i32 s3, s27, s8
	v_and_b32_e32 v0, 0x3e0, v0
	v_add3_u32 v14, v11, v14, v8
	s_mul_i32 s7, s26, s6
	s_mul_i32 s0, s14, s6
	s_mul_hi_u32 s2, s14, s8
	v_or_b32_e32 v12, 0x400, v0
	v_mad_u64_u32 v[3:4], null, s26, s8, v[13:14]
	v_or_b32_e32 v11, v0, v15
	v_mov_b32_e32 v8, 0
	v_or_b32_e32 v13, v12, v15
	s_add_i32 s0, s2, s0
	s_mul_i32 s2, s15, s8
	v_cmp_gt_i32_e32 vcc_lo, s42, v1
	v_add3_u32 v4, s7, s3, v4
	s_add_i32 s2, s0, s2
	s_mul_i32 s7, s14, s8
	s_mov_b32 s3, 0
	s_branch .LBB18_9
.LBB18_8:                               ;   in Loop: Header=BB18_9 Depth=1
	s_or_b32 exec_lo, exec_lo, s9
	v_add_nc_u32_e32 v10, 8, v10
	v_cmp_ge_i32_e64 s0, v10, v9
	s_or_b32 s3, s0, s3
	s_andn2_b32 exec_lo, exec_lo, s3
	s_cbranch_execz .LBB18_13
.LBB18_9:                               ; =>This Inner Loop Header: Depth=1
	v_add_nc_u32_e32 v15, v7, v10
	v_mov_b32_e32 v14, 0
	v_mov_b32_e32 v16, 0
	s_mov_b32 s9, exec_lo
	s_barrier
	buffer_gl0_inv
	v_cmpx_lt_i32_e64 v15, v9
	s_cbranch_execz .LBB18_11
; %bb.10:                               ;   in Loop: Header=BB18_9 Depth=1
	v_ashrrev_i32_e32 v16, 31, v15
	v_add_co_u32 v14, s0, s7, v15
	v_add_co_ci_u32_e64 v15, null, s2, v16, s0
	v_lshlrev_b64 v[16:17], 2, v[14:15]
	v_add_co_u32 v16, s0, s18, v16
	v_add_co_ci_u32_e64 v17, null, s19, v17, s0
	v_add_co_u32 v14, s0, s20, v14
	v_add_co_ci_u32_e64 v15, null, s21, v15, s0
	global_load_dword v16, v[16:17], off
	global_load_sbyte v15, v[14:15], off
	s_waitcnt vmcnt(1)
	v_subrev_nc_u32_e32 v14, s11, v16
	s_waitcnt vmcnt(0)
	v_cvt_f32_i32_e32 v16, v15
.LBB18_11:                              ;   in Loop: Header=BB18_9 Depth=1
	s_or_b32 exec_lo, exec_lo, s9
	ds_write_b32 v11, v14
	ds_write_b32 v13, v16
	s_waitcnt lgkmcnt(0)
	s_barrier
	buffer_gl0_inv
	s_and_saveexec_b32 s9, vcc_lo
	s_cbranch_execz .LBB18_8
; %bb.12:                               ;   in Loop: Header=BB18_9 Depth=1
	ds_read_b128 v[14:17], v0
	ds_read_b128 v[18:21], v0 offset:16
	s_waitcnt lgkmcnt(1)
	v_ashrrev_i32_e32 v23, 31, v14
	v_add_co_u32 v22, s0, v3, v14
	v_ashrrev_i32_e32 v24, 31, v15
	v_ashrrev_i32_e32 v25, 31, v16
	v_add_co_ci_u32_e64 v23, null, v4, v23, s0
	v_add_co_u32 v14, s0, v3, v15
	v_add_co_ci_u32_e64 v15, null, v4, v24, s0
	global_load_sbyte v24, v[22:23], off
	v_add_co_u32 v22, s0, v3, v16
	v_add_co_ci_u32_e64 v23, null, v4, v25, s0
	v_ashrrev_i32_e32 v26, 31, v17
	global_load_sbyte v25, v[14:15], off
	s_waitcnt lgkmcnt(0)
	v_ashrrev_i32_e32 v27, 31, v18
	global_load_sbyte v22, v[22:23], off
	v_add_co_u32 v14, s0, v3, v17
	v_add_co_ci_u32_e64 v15, null, v4, v26, s0
	v_add_co_u32 v16, s0, v3, v18
	v_add_co_ci_u32_e64 v17, null, v4, v27, s0
	v_ashrrev_i32_e32 v28, 31, v19
	v_ashrrev_i32_e32 v29, 31, v20
	s_clause 0x1
	global_load_sbyte v23, v[14:15], off
	global_load_sbyte v26, v[16:17], off
	v_add_co_u32 v14, s0, v3, v19
	v_add_co_ci_u32_e64 v15, null, v4, v28, s0
	v_add_co_u32 v16, s0, v3, v20
	v_add_co_ci_u32_e64 v17, null, v4, v29, s0
	s_clause 0x1
	global_load_sbyte v27, v[14:15], off
	global_load_sbyte v28, v[16:17], off
	v_ashrrev_i32_e32 v15, 31, v21
	v_add_co_u32 v14, s0, v3, v21
	ds_read_b128 v[18:21], v12 offset:16
	v_add_co_ci_u32_e64 v15, null, v4, v15, s0
	global_load_sbyte v29, v[14:15], off
	ds_read_b128 v[14:17], v12
	s_waitcnt vmcnt(7)
	v_cvt_f32_i32_e32 v24, v24
	s_waitcnt lgkmcnt(0)
	v_fmac_f32_e32 v8, v14, v24
	s_waitcnt vmcnt(6)
	v_cvt_f32_i32_e32 v25, v25
	s_waitcnt vmcnt(5)
	v_cvt_f32_i32_e32 v14, v22
	v_fmac_f32_e32 v8, v15, v25
	v_fmac_f32_e32 v8, v16, v14
	s_waitcnt vmcnt(4)
	v_cvt_f32_i32_e32 v15, v23
	s_waitcnt vmcnt(3)
	v_cvt_f32_i32_e32 v14, v26
	v_fmac_f32_e32 v8, v17, v15
	s_waitcnt vmcnt(2)
	v_cvt_f32_i32_e32 v15, v27
	v_fmac_f32_e32 v8, v18, v14
	;; [unrolled: 3-line block ×3, first 2 shown]
	v_fmac_f32_e32 v8, v20, v14
	s_waitcnt vmcnt(0)
	v_cvt_f32_i32_e32 v14, v29
	v_fmac_f32_e32 v8, v21, v14
	s_branch .LBB18_8
.LBB18_13:
	s_or_b32 exec_lo, exec_lo, s3
.LBB18_14:
	s_or_b32 exec_lo, exec_lo, s1
	v_cmp_gt_i32_e32 vcc_lo, s42, v1
	s_and_b32 exec_lo, exec_lo, vcc_lo
	s_cbranch_execz .LBB18_21
; %bb.15:
	s_clause 0x1
	s_load_dwordx2 s[12:13], s[4:5], 0x70
	s_load_dwordx4 s[0:3], s[4:5], 0x60
	v_cmp_neq_f32_e64 s4, s38, 0
	v_mul_f32_e32 v0, s36, v8
	s_cmp_lg_u32 s10, 1
	s_cselect_b32 s7, -1, 0
	s_and_b32 vcc_lo, exec_lo, s4
	s_waitcnt lgkmcnt(0)
	s_mul_i32 s9, s12, s6
	s_mul_hi_u32 s10, s12, s8
	s_mul_i32 s6, s13, s8
	s_mul_i32 s4, s12, s8
	s_cbranch_vccz .LBB18_22
; %bb.16:
	s_add_i32 s5, s10, s9
	s_and_b32 vcc_lo, exec_lo, s7
	s_add_i32 s5, s5, s6
	s_mov_b32 s8, -1
	s_cbranch_vccz .LBB18_18
; %bb.17:
	v_mad_u64_u32 v[3:4], null, s2, v6, 0
	s_lshl_b64 s[12:13], s[4:5], 2
	s_mov_b32 s8, 0
	v_mad_u64_u32 v[7:8], null, s3, v6, v[4:5]
	v_mov_b32_e32 v4, v7
	v_lshlrev_b64 v[7:8], 2, v[1:2]
	v_lshlrev_b64 v[3:4], 2, v[3:4]
	v_add_co_u32 v3, vcc_lo, s0, v3
	v_add_co_ci_u32_e64 v4, null, s1, v4, vcc_lo
	v_add_co_u32 v3, vcc_lo, v3, v7
	v_add_co_ci_u32_e64 v4, null, v4, v8, vcc_lo
	;; [unrolled: 2-line block ×3, first 2 shown]
	global_load_dword v7, v[3:4], off
	s_waitcnt vmcnt(0)
	v_fma_f32 v7, s38, v7, v0
	global_store_dword v[3:4], v7, off
.LBB18_18:
	s_andn2_b32 vcc_lo, exec_lo, s8
	s_cbranch_vccnz .LBB18_20
; %bb.19:
	v_mul_lo_u32 v7, s3, v1
	v_mul_lo_u32 v8, s2, v2
	v_mad_u64_u32 v[3:4], null, s2, v1, 0
	s_lshl_b64 s[12:13], s[4:5], 2
	v_add3_u32 v4, v4, v8, v7
	v_lshlrev_b64 v[3:4], 2, v[3:4]
	v_add_co_u32 v3, vcc_lo, s0, v3
	v_add_co_ci_u32_e64 v4, null, s1, v4, vcc_lo
	v_add_co_u32 v3, vcc_lo, v3, v5
	v_add_co_ci_u32_e64 v4, null, 0, v4, vcc_lo
	v_add_co_u32 v3, vcc_lo, v3, s12
	v_add_co_ci_u32_e64 v4, null, s13, v4, vcc_lo
	global_load_dword v7, v[3:4], off
	s_waitcnt vmcnt(0)
	v_fma_f32 v7, s38, v7, v0
	global_store_dword v[3:4], v7, off
.LBB18_20:
	s_cbranch_execz .LBB18_23
.LBB18_21:
	s_endpgm
.LBB18_22:
.LBB18_23:
	s_add_i32 s5, s10, s9
	s_and_b32 vcc_lo, exec_lo, s7
	s_add_i32 s5, s5, s6
	s_mov_b32 s6, -1
	s_cbranch_vccz .LBB18_25
; %bb.24:
	v_mad_u64_u32 v[3:4], null, s2, v6, 0
	s_lshl_b64 s[6:7], s[4:5], 2
	v_mad_u64_u32 v[6:7], null, s3, v6, v[4:5]
	v_mov_b32_e32 v4, v6
	v_lshlrev_b64 v[6:7], 2, v[1:2]
	v_lshlrev_b64 v[3:4], 2, v[3:4]
	v_add_co_u32 v3, vcc_lo, s0, v3
	v_add_co_ci_u32_e64 v4, null, s1, v4, vcc_lo
	v_add_co_u32 v3, vcc_lo, v3, v6
	v_add_co_ci_u32_e64 v4, null, v4, v7, vcc_lo
	;; [unrolled: 2-line block ×3, first 2 shown]
	s_mov_b32 s6, 0
	global_store_dword v[3:4], v0, off
.LBB18_25:
	s_andn2_b32 vcc_lo, exec_lo, s6
	s_cbranch_vccnz .LBB18_21
; %bb.26:
	v_mul_lo_u32 v3, s3, v1
	v_mul_lo_u32 v4, s2, v2
	v_mad_u64_u32 v[1:2], null, s2, v1, 0
	v_add3_u32 v2, v2, v4, v3
	v_lshlrev_b64 v[1:2], 2, v[1:2]
	v_add_co_u32 v1, vcc_lo, s0, v1
	v_add_co_ci_u32_e64 v2, null, s1, v2, vcc_lo
	s_lshl_b64 s[0:1], s[4:5], 2
	v_add_co_u32 v1, vcc_lo, v1, v5
	v_add_co_ci_u32_e64 v2, null, 0, v2, vcc_lo
	v_add_co_u32 v1, vcc_lo, v1, s0
	v_add_co_ci_u32_e64 v2, null, s1, v2, vcc_lo
	global_store_dword v[1:2], v0, off
	s_endpgm
	.section	.rodata,"a",@progbits
	.p2align	6, 0x0
	.amdhsa_kernel _ZN9rocsparse31csrmmnn_row_split_shared_kernelILj256ELj8EfiiaafEEvNS_24const_host_device_scalarIT1_EES3_bbbT3_S4_llPKT2_PKS4_PKT4_PKT5_llPT6_ll16rocsparse_order_21rocsparse_index_base_
		.amdhsa_group_segment_fixed_size 2048
		.amdhsa_private_segment_fixed_size 0
		.amdhsa_kernarg_size 128
		.amdhsa_user_sgpr_count 6
		.amdhsa_user_sgpr_private_segment_buffer 1
		.amdhsa_user_sgpr_dispatch_ptr 0
		.amdhsa_user_sgpr_queue_ptr 0
		.amdhsa_user_sgpr_kernarg_segment_ptr 1
		.amdhsa_user_sgpr_dispatch_id 0
		.amdhsa_user_sgpr_flat_scratch_init 0
		.amdhsa_user_sgpr_private_segment_size 0
		.amdhsa_wavefront_size32 1
		.amdhsa_uses_dynamic_stack 0
		.amdhsa_system_sgpr_private_segment_wavefront_offset 0
		.amdhsa_system_sgpr_workgroup_id_x 1
		.amdhsa_system_sgpr_workgroup_id_y 1
		.amdhsa_system_sgpr_workgroup_id_z 1
		.amdhsa_system_sgpr_workgroup_info 0
		.amdhsa_system_vgpr_workitem_id 0
		.amdhsa_next_free_vgpr 30
		.amdhsa_next_free_sgpr 44
		.amdhsa_reserve_vcc 1
		.amdhsa_reserve_flat_scratch 0
		.amdhsa_float_round_mode_32 0
		.amdhsa_float_round_mode_16_64 0
		.amdhsa_float_denorm_mode_32 3
		.amdhsa_float_denorm_mode_16_64 3
		.amdhsa_dx10_clamp 1
		.amdhsa_ieee_mode 1
		.amdhsa_fp16_overflow 0
		.amdhsa_workgroup_processor_mode 1
		.amdhsa_memory_ordered 1
		.amdhsa_forward_progress 1
		.amdhsa_shared_vgpr_count 0
		.amdhsa_exception_fp_ieee_invalid_op 0
		.amdhsa_exception_fp_denorm_src 0
		.amdhsa_exception_fp_ieee_div_zero 0
		.amdhsa_exception_fp_ieee_overflow 0
		.amdhsa_exception_fp_ieee_underflow 0
		.amdhsa_exception_fp_ieee_inexact 0
		.amdhsa_exception_int_div_zero 0
	.end_amdhsa_kernel
	.section	.text._ZN9rocsparse31csrmmnn_row_split_shared_kernelILj256ELj8EfiiaafEEvNS_24const_host_device_scalarIT1_EES3_bbbT3_S4_llPKT2_PKS4_PKT4_PKT5_llPT6_ll16rocsparse_order_21rocsparse_index_base_,"axG",@progbits,_ZN9rocsparse31csrmmnn_row_split_shared_kernelILj256ELj8EfiiaafEEvNS_24const_host_device_scalarIT1_EES3_bbbT3_S4_llPKT2_PKS4_PKT4_PKT5_llPT6_ll16rocsparse_order_21rocsparse_index_base_,comdat
.Lfunc_end18:
	.size	_ZN9rocsparse31csrmmnn_row_split_shared_kernelILj256ELj8EfiiaafEEvNS_24const_host_device_scalarIT1_EES3_bbbT3_S4_llPKT2_PKS4_PKT4_PKT5_llPT6_ll16rocsparse_order_21rocsparse_index_base_, .Lfunc_end18-_ZN9rocsparse31csrmmnn_row_split_shared_kernelILj256ELj8EfiiaafEEvNS_24const_host_device_scalarIT1_EES3_bbbT3_S4_llPKT2_PKS4_PKT4_PKT5_llPT6_ll16rocsparse_order_21rocsparse_index_base_
                                        ; -- End function
	.set _ZN9rocsparse31csrmmnn_row_split_shared_kernelILj256ELj8EfiiaafEEvNS_24const_host_device_scalarIT1_EES3_bbbT3_S4_llPKT2_PKS4_PKT4_PKT5_llPT6_ll16rocsparse_order_21rocsparse_index_base_.num_vgpr, 30
	.set _ZN9rocsparse31csrmmnn_row_split_shared_kernelILj256ELj8EfiiaafEEvNS_24const_host_device_scalarIT1_EES3_bbbT3_S4_llPKT2_PKS4_PKT4_PKT5_llPT6_ll16rocsparse_order_21rocsparse_index_base_.num_agpr, 0
	.set _ZN9rocsparse31csrmmnn_row_split_shared_kernelILj256ELj8EfiiaafEEvNS_24const_host_device_scalarIT1_EES3_bbbT3_S4_llPKT2_PKS4_PKT4_PKT5_llPT6_ll16rocsparse_order_21rocsparse_index_base_.numbered_sgpr, 44
	.set _ZN9rocsparse31csrmmnn_row_split_shared_kernelILj256ELj8EfiiaafEEvNS_24const_host_device_scalarIT1_EES3_bbbT3_S4_llPKT2_PKS4_PKT4_PKT5_llPT6_ll16rocsparse_order_21rocsparse_index_base_.num_named_barrier, 0
	.set _ZN9rocsparse31csrmmnn_row_split_shared_kernelILj256ELj8EfiiaafEEvNS_24const_host_device_scalarIT1_EES3_bbbT3_S4_llPKT2_PKS4_PKT4_PKT5_llPT6_ll16rocsparse_order_21rocsparse_index_base_.private_seg_size, 0
	.set _ZN9rocsparse31csrmmnn_row_split_shared_kernelILj256ELj8EfiiaafEEvNS_24const_host_device_scalarIT1_EES3_bbbT3_S4_llPKT2_PKS4_PKT4_PKT5_llPT6_ll16rocsparse_order_21rocsparse_index_base_.uses_vcc, 1
	.set _ZN9rocsparse31csrmmnn_row_split_shared_kernelILj256ELj8EfiiaafEEvNS_24const_host_device_scalarIT1_EES3_bbbT3_S4_llPKT2_PKS4_PKT4_PKT5_llPT6_ll16rocsparse_order_21rocsparse_index_base_.uses_flat_scratch, 0
	.set _ZN9rocsparse31csrmmnn_row_split_shared_kernelILj256ELj8EfiiaafEEvNS_24const_host_device_scalarIT1_EES3_bbbT3_S4_llPKT2_PKS4_PKT4_PKT5_llPT6_ll16rocsparse_order_21rocsparse_index_base_.has_dyn_sized_stack, 0
	.set _ZN9rocsparse31csrmmnn_row_split_shared_kernelILj256ELj8EfiiaafEEvNS_24const_host_device_scalarIT1_EES3_bbbT3_S4_llPKT2_PKS4_PKT4_PKT5_llPT6_ll16rocsparse_order_21rocsparse_index_base_.has_recursion, 0
	.set _ZN9rocsparse31csrmmnn_row_split_shared_kernelILj256ELj8EfiiaafEEvNS_24const_host_device_scalarIT1_EES3_bbbT3_S4_llPKT2_PKS4_PKT4_PKT5_llPT6_ll16rocsparse_order_21rocsparse_index_base_.has_indirect_call, 0
	.section	.AMDGPU.csdata,"",@progbits
; Kernel info:
; codeLenInByte = 1540
; TotalNumSgprs: 46
; NumVgprs: 30
; ScratchSize: 0
; MemoryBound: 0
; FloatMode: 240
; IeeeMode: 1
; LDSByteSize: 2048 bytes/workgroup (compile time only)
; SGPRBlocks: 0
; VGPRBlocks: 3
; NumSGPRsForWavesPerEU: 46
; NumVGPRsForWavesPerEU: 30
; Occupancy: 16
; WaveLimiterHint : 1
; COMPUTE_PGM_RSRC2:SCRATCH_EN: 0
; COMPUTE_PGM_RSRC2:USER_SGPR: 6
; COMPUTE_PGM_RSRC2:TRAP_HANDLER: 0
; COMPUTE_PGM_RSRC2:TGID_X_EN: 1
; COMPUTE_PGM_RSRC2:TGID_Y_EN: 1
; COMPUTE_PGM_RSRC2:TGID_Z_EN: 1
; COMPUTE_PGM_RSRC2:TIDIG_COMP_CNT: 0
	.section	.text._ZN9rocsparse31csrmmnn_row_split_shared_kernelILj256ELj8EfliaafEEvNS_24const_host_device_scalarIT1_EES3_bbbT3_S4_llPKT2_PKS4_PKT4_PKT5_llPT6_ll16rocsparse_order_21rocsparse_index_base_,"axG",@progbits,_ZN9rocsparse31csrmmnn_row_split_shared_kernelILj256ELj8EfliaafEEvNS_24const_host_device_scalarIT1_EES3_bbbT3_S4_llPKT2_PKS4_PKT4_PKT5_llPT6_ll16rocsparse_order_21rocsparse_index_base_,comdat
	.protected	_ZN9rocsparse31csrmmnn_row_split_shared_kernelILj256ELj8EfliaafEEvNS_24const_host_device_scalarIT1_EES3_bbbT3_S4_llPKT2_PKS4_PKT4_PKT5_llPT6_ll16rocsparse_order_21rocsparse_index_base_ ; -- Begin function _ZN9rocsparse31csrmmnn_row_split_shared_kernelILj256ELj8EfliaafEEvNS_24const_host_device_scalarIT1_EES3_bbbT3_S4_llPKT2_PKS4_PKT4_PKT5_llPT6_ll16rocsparse_order_21rocsparse_index_base_
	.globl	_ZN9rocsparse31csrmmnn_row_split_shared_kernelILj256ELj8EfliaafEEvNS_24const_host_device_scalarIT1_EES3_bbbT3_S4_llPKT2_PKS4_PKT4_PKT5_llPT6_ll16rocsparse_order_21rocsparse_index_base_
	.p2align	8
	.type	_ZN9rocsparse31csrmmnn_row_split_shared_kernelILj256ELj8EfliaafEEvNS_24const_host_device_scalarIT1_EES3_bbbT3_S4_llPKT2_PKS4_PKT4_PKT5_llPT6_ll16rocsparse_order_21rocsparse_index_base_,@function
_ZN9rocsparse31csrmmnn_row_split_shared_kernelILj256ELj8EfliaafEEvNS_24const_host_device_scalarIT1_EES3_bbbT3_S4_llPKT2_PKS4_PKT4_PKT5_llPT6_ll16rocsparse_order_21rocsparse_index_base_: ; @_ZN9rocsparse31csrmmnn_row_split_shared_kernelILj256ELj8EfliaafEEvNS_24const_host_device_scalarIT1_EES3_bbbT3_S4_llPKT2_PKS4_PKT4_PKT5_llPT6_ll16rocsparse_order_21rocsparse_index_base_
; %bb.0:
	s_load_dwordx8 s[36:43], s[4:5], 0x0
	s_waitcnt lgkmcnt(0)
	s_bitcmp1_b32 s40, 0
	s_cselect_b32 s0, -1, 0
	s_and_b32 vcc_lo, exec_lo, s0
	s_xor_b32 s0, s0, -1
	s_cbranch_vccnz .LBB19_2
; %bb.1:
	s_load_dword s36, s[36:37], 0x0
.LBB19_2:
	s_andn2_b32 vcc_lo, exec_lo, s0
	s_cbranch_vccnz .LBB19_4
; %bb.3:
	s_load_dword s38, s[38:39], 0x0
.LBB19_4:
	s_waitcnt lgkmcnt(0)
	v_cmp_eq_f32_e64 s0, s36, 0
	v_cmp_eq_f32_e64 s1, s38, 1.0
	s_and_b32 s0, s0, s1
	s_and_b32 vcc_lo, exec_lo, s0
	s_cbranch_vccnz .LBB19_21
; %bb.5:
	v_lshl_or_b32 v1, s6, 8, v0
	s_mov_b32 s0, exec_lo
	v_lshrrev_b32_e32 v11, 3, v1
	v_cmpx_gt_i32_e64 s41, v11
	s_cbranch_execz .LBB19_21
; %bb.6:
	s_load_dwordx16 s[12:27], s[4:5], 0x20
	s_ashr_i32 s6, s8, 31
	v_lshlrev_b32_e32 v1, 3, v11
	s_load_dwordx2 s[10:11], s[4:5], 0x78
	v_and_b32_e32 v12, 7, v0
	v_mov_b32_e32 v13, 0
	v_lshl_or_b32 v5, s7, 3, v12
	v_ashrrev_i32_e32 v6, 31, v5
	s_waitcnt lgkmcnt(0)
	s_mul_hi_u32 s0, s12, s8
	s_mul_i32 s1, s12, s6
	s_mul_i32 s2, s13, s8
	s_add_i32 s1, s0, s1
	s_mul_i32 s0, s12, s8
	s_add_i32 s1, s1, s2
	s_mov_b32 s2, exec_lo
	s_lshl_b64 s[0:1], s[0:1], 3
	s_add_u32 s0, s16, s0
	s_addc_u32 s1, s17, s1
	global_load_dwordx4 v[1:4], v1, s[0:1]
	s_waitcnt vmcnt(0)
	v_cmpx_lt_i64_e64 v[1:2], v[3:4]
	s_cbranch_execz .LBB19_14
; %bb.7:
	v_lshlrev_b32_e32 v0, 2, v0
	v_sub_co_u32 v3, vcc_lo, v3, s11
	v_subrev_co_ci_u32_e64 v4, null, 0, v4, vcc_lo
	v_sub_co_u32 v7, vcc_lo, v1, s11
	v_and_b32_e32 v14, 0x3e0, v0
	v_mad_u64_u32 v[0:1], null, s14, s8, v[1:2]
	s_mul_i32 s0, s15, s8
	s_mul_i32 s1, s14, s6
	v_mul_lo_u32 v17, s24, v6
	s_add_i32 s0, s1, s0
	v_mul_lo_u32 v18, s25, v5
	v_mad_u64_u32 v[9:10], null, s24, v5, s[22:23]
	v_add_nc_u32_e32 v1, s0, v1
	v_subrev_co_ci_u32_e64 v8, null, 0, v2, vcc_lo
	v_add_co_u32 v0, vcc_lo, v0, v12
	v_add_co_ci_u32_e64 v1, null, 0, v1, vcc_lo
	v_add3_u32 v10, v18, v10, v17
	v_sub_co_u32 v17, vcc_lo, v0, s11
	v_subrev_co_ci_u32_e64 v18, null, 0, v1, vcc_lo
	v_mad_u64_u32 v[0:1], null, s26, s8, v[9:10]
	s_mul_hi_u32 s1, s14, s8
	v_lshlrev_b64 v[9:10], 2, v[17:18]
	s_add_i32 s1, s0, s1
	s_mul_i32 s0, s27, s8
	s_mul_i32 s7, s26, s6
	;; [unrolled: 1-line block ×3, first 2 shown]
	v_add3_u32 v1, s7, s0, v1
	v_add_co_u32 v9, s0, s18, v9
	v_lshlrev_b32_e32 v16, 2, v12
	v_or_b32_e32 v15, 0x400, v14
	v_add_co_ci_u32_e64 v10, null, s19, v10, s0
	s_add_u32 s0, s20, s3
	s_addc_u32 s1, s21, s1
	v_add_co_u32 v17, s0, s0, v12
	v_mov_b32_e32 v13, 0
	v_or_b32_e32 v2, v14, v16
	v_or_b32_e32 v16, v15, v16
	v_add_co_ci_u32_e64 v18, null, s1, 0, s0
	s_mov_b32 s3, 0
	v_cmp_gt_i32_e32 vcc_lo, s42, v5
	s_branch .LBB19_9
.LBB19_8:                               ;   in Loop: Header=BB19_9 Depth=1
	s_or_b32 exec_lo, exec_lo, s1
	v_add_co_u32 v7, s0, v7, 8
	v_add_co_ci_u32_e64 v8, null, 0, v8, s0
	v_add_co_u32 v9, s1, v9, 32
	v_add_co_ci_u32_e64 v10, null, 0, v10, s1
	v_cmp_ge_i64_e64 s0, v[7:8], v[3:4]
	s_or_b32 s3, s0, s3
	s_andn2_b32 exec_lo, exec_lo, s3
	s_cbranch_execz .LBB19_13
.LBB19_9:                               ; =>This Inner Loop Header: Depth=1
	v_add_co_u32 v19, s0, v12, v7
	v_add_co_ci_u32_e64 v20, null, 0, v8, s0
	s_barrier
	buffer_gl0_inv
	v_cmp_lt_i64_e64 s0, v[19:20], v[3:4]
	v_mov_b32_e32 v19, 0
	v_mov_b32_e32 v20, 0
	s_and_saveexec_b32 s1, s0
	s_cbranch_execz .LBB19_11
; %bb.10:                               ;   in Loop: Header=BB19_9 Depth=1
	v_add_co_u32 v19, s0, v17, v7
	v_add_co_ci_u32_e64 v20, null, v18, v8, s0
	global_load_dword v21, v[9:10], off
	global_load_sbyte v20, v[19:20], off
	s_waitcnt vmcnt(1)
	v_subrev_nc_u32_e32 v19, s11, v21
	s_waitcnt vmcnt(0)
	v_cvt_f32_i32_e32 v20, v20
.LBB19_11:                              ;   in Loop: Header=BB19_9 Depth=1
	s_or_b32 exec_lo, exec_lo, s1
	ds_write_b32 v2, v19
	ds_write_b32 v16, v20
	s_waitcnt lgkmcnt(0)
	s_barrier
	buffer_gl0_inv
	s_and_saveexec_b32 s1, vcc_lo
	s_cbranch_execz .LBB19_8
; %bb.12:                               ;   in Loop: Header=BB19_9 Depth=1
	ds_read_b128 v[19:22], v14
	ds_read_b128 v[23:26], v14 offset:16
	s_waitcnt lgkmcnt(1)
	v_ashrrev_i32_e32 v28, 31, v19
	v_add_co_u32 v27, s0, v0, v19
	v_ashrrev_i32_e32 v29, 31, v20
	v_ashrrev_i32_e32 v30, 31, v21
	v_add_co_ci_u32_e64 v28, null, v1, v28, s0
	v_add_co_u32 v19, s0, v0, v20
	v_add_co_ci_u32_e64 v20, null, v1, v29, s0
	global_load_sbyte v29, v[27:28], off
	v_add_co_u32 v27, s0, v0, v21
	v_add_co_ci_u32_e64 v28, null, v1, v30, s0
	v_ashrrev_i32_e32 v31, 31, v22
	global_load_sbyte v30, v[19:20], off
	s_waitcnt lgkmcnt(0)
	v_ashrrev_i32_e32 v32, 31, v23
	global_load_sbyte v27, v[27:28], off
	v_add_co_u32 v19, s0, v0, v22
	v_add_co_ci_u32_e64 v20, null, v1, v31, s0
	v_add_co_u32 v21, s0, v0, v23
	v_add_co_ci_u32_e64 v22, null, v1, v32, s0
	v_ashrrev_i32_e32 v33, 31, v24
	v_ashrrev_i32_e32 v34, 31, v25
	s_clause 0x1
	global_load_sbyte v28, v[19:20], off
	global_load_sbyte v31, v[21:22], off
	v_add_co_u32 v19, s0, v0, v24
	v_add_co_ci_u32_e64 v20, null, v1, v33, s0
	v_add_co_u32 v21, s0, v0, v25
	v_add_co_ci_u32_e64 v22, null, v1, v34, s0
	s_clause 0x1
	global_load_sbyte v32, v[19:20], off
	global_load_sbyte v33, v[21:22], off
	v_ashrrev_i32_e32 v20, 31, v26
	v_add_co_u32 v19, s0, v0, v26
	ds_read_b128 v[23:26], v15 offset:16
	v_add_co_ci_u32_e64 v20, null, v1, v20, s0
	global_load_sbyte v34, v[19:20], off
	ds_read_b128 v[19:22], v15
	s_waitcnt vmcnt(7)
	v_cvt_f32_i32_e32 v29, v29
	s_waitcnt lgkmcnt(0)
	v_fmac_f32_e32 v13, v19, v29
	s_waitcnt vmcnt(6)
	v_cvt_f32_i32_e32 v30, v30
	s_waitcnt vmcnt(5)
	v_cvt_f32_i32_e32 v19, v27
	v_fmac_f32_e32 v13, v20, v30
	v_fmac_f32_e32 v13, v21, v19
	s_waitcnt vmcnt(4)
	v_cvt_f32_i32_e32 v20, v28
	s_waitcnt vmcnt(3)
	v_cvt_f32_i32_e32 v19, v31
	v_fmac_f32_e32 v13, v22, v20
	s_waitcnt vmcnt(2)
	v_cvt_f32_i32_e32 v20, v32
	v_fmac_f32_e32 v13, v23, v19
	;; [unrolled: 3-line block ×3, first 2 shown]
	v_fmac_f32_e32 v13, v25, v19
	s_waitcnt vmcnt(0)
	v_cvt_f32_i32_e32 v19, v34
	v_fmac_f32_e32 v13, v26, v19
	s_branch .LBB19_8
.LBB19_13:
	s_or_b32 exec_lo, exec_lo, s3
.LBB19_14:
	s_or_b32 exec_lo, exec_lo, s2
	v_cmp_gt_i32_e32 vcc_lo, s42, v5
	s_and_b32 exec_lo, exec_lo, vcc_lo
	s_cbranch_execz .LBB19_21
; %bb.15:
	s_clause 0x1
	s_load_dwordx2 s[12:13], s[4:5], 0x70
	s_load_dwordx4 s[0:3], s[4:5], 0x60
	v_cmp_neq_f32_e64 s4, s38, 0
	v_mul_f32_e32 v0, s36, v13
	s_cmp_lg_u32 s10, 1
	s_cselect_b32 s7, -1, 0
	s_and_b32 vcc_lo, exec_lo, s4
	s_waitcnt lgkmcnt(0)
	s_mul_i32 s9, s12, s6
	s_mul_hi_u32 s10, s12, s8
	s_mul_i32 s6, s13, s8
	s_mul_i32 s4, s12, s8
	s_cbranch_vccz .LBB19_22
; %bb.16:
	s_add_i32 s5, s10, s9
	s_and_b32 vcc_lo, exec_lo, s7
	s_add_i32 s5, s5, s6
	s_mov_b32 s8, -1
	s_cbranch_vccz .LBB19_18
; %bb.17:
	v_mad_u64_u32 v[1:2], null, s2, v11, 0
	s_lshl_b64 s[12:13], s[4:5], 2
	s_mov_b32 s8, 0
	v_mad_u64_u32 v[2:3], null, s3, v11, v[2:3]
	v_lshlrev_b64 v[3:4], 2, v[5:6]
	v_lshlrev_b64 v[1:2], 2, v[1:2]
	v_add_co_u32 v1, vcc_lo, s0, v1
	v_add_co_ci_u32_e64 v2, null, s1, v2, vcc_lo
	v_add_co_u32 v1, vcc_lo, v1, v3
	v_add_co_ci_u32_e64 v2, null, v2, v4, vcc_lo
	;; [unrolled: 2-line block ×3, first 2 shown]
	global_load_dword v3, v[1:2], off
	s_waitcnt vmcnt(0)
	v_fma_f32 v3, s38, v3, v0
	global_store_dword v[1:2], v3, off
.LBB19_18:
	s_andn2_b32 vcc_lo, exec_lo, s8
	s_cbranch_vccnz .LBB19_20
; %bb.19:
	v_mul_lo_u32 v3, s3, v5
	v_mul_lo_u32 v4, s2, v6
	v_mad_u64_u32 v[1:2], null, s2, v5, 0
	s_lshl_b64 s[12:13], s[4:5], 2
	v_add3_u32 v2, v2, v4, v3
	v_lshlrev_b32_e32 v3, 2, v11
	v_lshlrev_b64 v[1:2], 2, v[1:2]
	v_add_co_u32 v1, vcc_lo, s0, v1
	v_add_co_ci_u32_e64 v2, null, s1, v2, vcc_lo
	v_add_co_u32 v1, vcc_lo, v1, v3
	v_add_co_ci_u32_e64 v2, null, 0, v2, vcc_lo
	;; [unrolled: 2-line block ×3, first 2 shown]
	global_load_dword v3, v[1:2], off
	s_waitcnt vmcnt(0)
	v_fma_f32 v3, s38, v3, v0
	global_store_dword v[1:2], v3, off
.LBB19_20:
	s_cbranch_execz .LBB19_23
.LBB19_21:
	s_endpgm
.LBB19_22:
.LBB19_23:
	s_add_i32 s5, s10, s9
	s_and_b32 vcc_lo, exec_lo, s7
	s_add_i32 s5, s5, s6
	s_mov_b32 s6, -1
	s_cbranch_vccz .LBB19_25
; %bb.24:
	v_mad_u64_u32 v[1:2], null, s2, v11, 0
	s_lshl_b64 s[6:7], s[4:5], 2
	v_mad_u64_u32 v[2:3], null, s3, v11, v[2:3]
	v_lshlrev_b64 v[3:4], 2, v[5:6]
	v_lshlrev_b64 v[1:2], 2, v[1:2]
	v_add_co_u32 v1, vcc_lo, s0, v1
	v_add_co_ci_u32_e64 v2, null, s1, v2, vcc_lo
	v_add_co_u32 v1, vcc_lo, v1, v3
	v_add_co_ci_u32_e64 v2, null, v2, v4, vcc_lo
	;; [unrolled: 2-line block ×3, first 2 shown]
	s_mov_b32 s6, 0
	global_store_dword v[1:2], v0, off
.LBB19_25:
	s_andn2_b32 vcc_lo, exec_lo, s6
	s_cbranch_vccnz .LBB19_21
; %bb.26:
	v_mul_lo_u32 v3, s3, v5
	v_mul_lo_u32 v4, s2, v6
	v_mad_u64_u32 v[1:2], null, s2, v5, 0
	v_add3_u32 v2, v2, v4, v3
	v_lshlrev_b32_e32 v3, 2, v11
	v_lshlrev_b64 v[1:2], 2, v[1:2]
	v_add_co_u32 v1, vcc_lo, s0, v1
	v_add_co_ci_u32_e64 v2, null, s1, v2, vcc_lo
	s_lshl_b64 s[0:1], s[4:5], 2
	v_add_co_u32 v1, vcc_lo, v1, v3
	v_add_co_ci_u32_e64 v2, null, 0, v2, vcc_lo
	v_add_co_u32 v1, vcc_lo, v1, s0
	v_add_co_ci_u32_e64 v2, null, s1, v2, vcc_lo
	global_store_dword v[1:2], v0, off
	s_endpgm
	.section	.rodata,"a",@progbits
	.p2align	6, 0x0
	.amdhsa_kernel _ZN9rocsparse31csrmmnn_row_split_shared_kernelILj256ELj8EfliaafEEvNS_24const_host_device_scalarIT1_EES3_bbbT3_S4_llPKT2_PKS4_PKT4_PKT5_llPT6_ll16rocsparse_order_21rocsparse_index_base_
		.amdhsa_group_segment_fixed_size 2048
		.amdhsa_private_segment_fixed_size 0
		.amdhsa_kernarg_size 128
		.amdhsa_user_sgpr_count 6
		.amdhsa_user_sgpr_private_segment_buffer 1
		.amdhsa_user_sgpr_dispatch_ptr 0
		.amdhsa_user_sgpr_queue_ptr 0
		.amdhsa_user_sgpr_kernarg_segment_ptr 1
		.amdhsa_user_sgpr_dispatch_id 0
		.amdhsa_user_sgpr_flat_scratch_init 0
		.amdhsa_user_sgpr_private_segment_size 0
		.amdhsa_wavefront_size32 1
		.amdhsa_uses_dynamic_stack 0
		.amdhsa_system_sgpr_private_segment_wavefront_offset 0
		.amdhsa_system_sgpr_workgroup_id_x 1
		.amdhsa_system_sgpr_workgroup_id_y 1
		.amdhsa_system_sgpr_workgroup_id_z 1
		.amdhsa_system_sgpr_workgroup_info 0
		.amdhsa_system_vgpr_workitem_id 0
		.amdhsa_next_free_vgpr 35
		.amdhsa_next_free_sgpr 44
		.amdhsa_reserve_vcc 1
		.amdhsa_reserve_flat_scratch 0
		.amdhsa_float_round_mode_32 0
		.amdhsa_float_round_mode_16_64 0
		.amdhsa_float_denorm_mode_32 3
		.amdhsa_float_denorm_mode_16_64 3
		.amdhsa_dx10_clamp 1
		.amdhsa_ieee_mode 1
		.amdhsa_fp16_overflow 0
		.amdhsa_workgroup_processor_mode 1
		.amdhsa_memory_ordered 1
		.amdhsa_forward_progress 1
		.amdhsa_shared_vgpr_count 0
		.amdhsa_exception_fp_ieee_invalid_op 0
		.amdhsa_exception_fp_denorm_src 0
		.amdhsa_exception_fp_ieee_div_zero 0
		.amdhsa_exception_fp_ieee_overflow 0
		.amdhsa_exception_fp_ieee_underflow 0
		.amdhsa_exception_fp_ieee_inexact 0
		.amdhsa_exception_int_div_zero 0
	.end_amdhsa_kernel
	.section	.text._ZN9rocsparse31csrmmnn_row_split_shared_kernelILj256ELj8EfliaafEEvNS_24const_host_device_scalarIT1_EES3_bbbT3_S4_llPKT2_PKS4_PKT4_PKT5_llPT6_ll16rocsparse_order_21rocsparse_index_base_,"axG",@progbits,_ZN9rocsparse31csrmmnn_row_split_shared_kernelILj256ELj8EfliaafEEvNS_24const_host_device_scalarIT1_EES3_bbbT3_S4_llPKT2_PKS4_PKT4_PKT5_llPT6_ll16rocsparse_order_21rocsparse_index_base_,comdat
.Lfunc_end19:
	.size	_ZN9rocsparse31csrmmnn_row_split_shared_kernelILj256ELj8EfliaafEEvNS_24const_host_device_scalarIT1_EES3_bbbT3_S4_llPKT2_PKS4_PKT4_PKT5_llPT6_ll16rocsparse_order_21rocsparse_index_base_, .Lfunc_end19-_ZN9rocsparse31csrmmnn_row_split_shared_kernelILj256ELj8EfliaafEEvNS_24const_host_device_scalarIT1_EES3_bbbT3_S4_llPKT2_PKS4_PKT4_PKT5_llPT6_ll16rocsparse_order_21rocsparse_index_base_
                                        ; -- End function
	.set _ZN9rocsparse31csrmmnn_row_split_shared_kernelILj256ELj8EfliaafEEvNS_24const_host_device_scalarIT1_EES3_bbbT3_S4_llPKT2_PKS4_PKT4_PKT5_llPT6_ll16rocsparse_order_21rocsparse_index_base_.num_vgpr, 35
	.set _ZN9rocsparse31csrmmnn_row_split_shared_kernelILj256ELj8EfliaafEEvNS_24const_host_device_scalarIT1_EES3_bbbT3_S4_llPKT2_PKS4_PKT4_PKT5_llPT6_ll16rocsparse_order_21rocsparse_index_base_.num_agpr, 0
	.set _ZN9rocsparse31csrmmnn_row_split_shared_kernelILj256ELj8EfliaafEEvNS_24const_host_device_scalarIT1_EES3_bbbT3_S4_llPKT2_PKS4_PKT4_PKT5_llPT6_ll16rocsparse_order_21rocsparse_index_base_.numbered_sgpr, 44
	.set _ZN9rocsparse31csrmmnn_row_split_shared_kernelILj256ELj8EfliaafEEvNS_24const_host_device_scalarIT1_EES3_bbbT3_S4_llPKT2_PKS4_PKT4_PKT5_llPT6_ll16rocsparse_order_21rocsparse_index_base_.num_named_barrier, 0
	.set _ZN9rocsparse31csrmmnn_row_split_shared_kernelILj256ELj8EfliaafEEvNS_24const_host_device_scalarIT1_EES3_bbbT3_S4_llPKT2_PKS4_PKT4_PKT5_llPT6_ll16rocsparse_order_21rocsparse_index_base_.private_seg_size, 0
	.set _ZN9rocsparse31csrmmnn_row_split_shared_kernelILj256ELj8EfliaafEEvNS_24const_host_device_scalarIT1_EES3_bbbT3_S4_llPKT2_PKS4_PKT4_PKT5_llPT6_ll16rocsparse_order_21rocsparse_index_base_.uses_vcc, 1
	.set _ZN9rocsparse31csrmmnn_row_split_shared_kernelILj256ELj8EfliaafEEvNS_24const_host_device_scalarIT1_EES3_bbbT3_S4_llPKT2_PKS4_PKT4_PKT5_llPT6_ll16rocsparse_order_21rocsparse_index_base_.uses_flat_scratch, 0
	.set _ZN9rocsparse31csrmmnn_row_split_shared_kernelILj256ELj8EfliaafEEvNS_24const_host_device_scalarIT1_EES3_bbbT3_S4_llPKT2_PKS4_PKT4_PKT5_llPT6_ll16rocsparse_order_21rocsparse_index_base_.has_dyn_sized_stack, 0
	.set _ZN9rocsparse31csrmmnn_row_split_shared_kernelILj256ELj8EfliaafEEvNS_24const_host_device_scalarIT1_EES3_bbbT3_S4_llPKT2_PKS4_PKT4_PKT5_llPT6_ll16rocsparse_order_21rocsparse_index_base_.has_recursion, 0
	.set _ZN9rocsparse31csrmmnn_row_split_shared_kernelILj256ELj8EfliaafEEvNS_24const_host_device_scalarIT1_EES3_bbbT3_S4_llPKT2_PKS4_PKT4_PKT5_llPT6_ll16rocsparse_order_21rocsparse_index_base_.has_indirect_call, 0
	.section	.AMDGPU.csdata,"",@progbits
; Kernel info:
; codeLenInByte = 1652
; TotalNumSgprs: 46
; NumVgprs: 35
; ScratchSize: 0
; MemoryBound: 0
; FloatMode: 240
; IeeeMode: 1
; LDSByteSize: 2048 bytes/workgroup (compile time only)
; SGPRBlocks: 0
; VGPRBlocks: 4
; NumSGPRsForWavesPerEU: 46
; NumVGPRsForWavesPerEU: 35
; Occupancy: 16
; WaveLimiterHint : 1
; COMPUTE_PGM_RSRC2:SCRATCH_EN: 0
; COMPUTE_PGM_RSRC2:USER_SGPR: 6
; COMPUTE_PGM_RSRC2:TRAP_HANDLER: 0
; COMPUTE_PGM_RSRC2:TGID_X_EN: 1
; COMPUTE_PGM_RSRC2:TGID_Y_EN: 1
; COMPUTE_PGM_RSRC2:TGID_Z_EN: 1
; COMPUTE_PGM_RSRC2:TIDIG_COMP_CNT: 0
	.section	.text._ZN9rocsparse31csrmmnn_row_split_shared_kernelILj256ELj8EfllaafEEvNS_24const_host_device_scalarIT1_EES3_bbbT3_S4_llPKT2_PKS4_PKT4_PKT5_llPT6_ll16rocsparse_order_21rocsparse_index_base_,"axG",@progbits,_ZN9rocsparse31csrmmnn_row_split_shared_kernelILj256ELj8EfllaafEEvNS_24const_host_device_scalarIT1_EES3_bbbT3_S4_llPKT2_PKS4_PKT4_PKT5_llPT6_ll16rocsparse_order_21rocsparse_index_base_,comdat
	.protected	_ZN9rocsparse31csrmmnn_row_split_shared_kernelILj256ELj8EfllaafEEvNS_24const_host_device_scalarIT1_EES3_bbbT3_S4_llPKT2_PKS4_PKT4_PKT5_llPT6_ll16rocsparse_order_21rocsparse_index_base_ ; -- Begin function _ZN9rocsparse31csrmmnn_row_split_shared_kernelILj256ELj8EfllaafEEvNS_24const_host_device_scalarIT1_EES3_bbbT3_S4_llPKT2_PKS4_PKT4_PKT5_llPT6_ll16rocsparse_order_21rocsparse_index_base_
	.globl	_ZN9rocsparse31csrmmnn_row_split_shared_kernelILj256ELj8EfllaafEEvNS_24const_host_device_scalarIT1_EES3_bbbT3_S4_llPKT2_PKS4_PKT4_PKT5_llPT6_ll16rocsparse_order_21rocsparse_index_base_
	.p2align	8
	.type	_ZN9rocsparse31csrmmnn_row_split_shared_kernelILj256ELj8EfllaafEEvNS_24const_host_device_scalarIT1_EES3_bbbT3_S4_llPKT2_PKS4_PKT4_PKT5_llPT6_ll16rocsparse_order_21rocsparse_index_base_,@function
_ZN9rocsparse31csrmmnn_row_split_shared_kernelILj256ELj8EfllaafEEvNS_24const_host_device_scalarIT1_EES3_bbbT3_S4_llPKT2_PKS4_PKT4_PKT5_llPT6_ll16rocsparse_order_21rocsparse_index_base_: ; @_ZN9rocsparse31csrmmnn_row_split_shared_kernelILj256ELj8EfllaafEEvNS_24const_host_device_scalarIT1_EES3_bbbT3_S4_llPKT2_PKS4_PKT4_PKT5_llPT6_ll16rocsparse_order_21rocsparse_index_base_
; %bb.0:
	s_clause 0x1
	s_load_dword s0, s[4:5], 0x10
	s_load_dwordx4 s[28:31], s[4:5], 0x0
	s_waitcnt lgkmcnt(0)
	s_bitcmp1_b32 s0, 0
	s_cselect_b32 s0, -1, 0
	s_and_b32 vcc_lo, exec_lo, s0
	s_xor_b32 s0, s0, -1
	s_cbranch_vccnz .LBB20_2
; %bb.1:
	s_load_dword s28, s[28:29], 0x0
.LBB20_2:
	s_andn2_b32 vcc_lo, exec_lo, s0
	s_cbranch_vccnz .LBB20_4
; %bb.3:
	s_load_dword s30, s[30:31], 0x0
.LBB20_4:
	s_waitcnt lgkmcnt(0)
	v_cmp_eq_f32_e64 s0, s28, 0
	v_cmp_eq_f32_e64 s1, s30, 1.0
	s_and_b32 s0, s0, s1
	s_and_b32 vcc_lo, exec_lo, s0
	s_cbranch_vccnz .LBB20_21
; %bb.5:
	s_load_dwordx16 s[12:27], s[4:5], 0x18
	v_lshl_or_b32 v1, s6, 8, v0
	v_mov_b32_e32 v6, 0
	s_mov_b32 s0, exec_lo
	v_lshrrev_b32_e32 v5, 3, v1
	s_waitcnt lgkmcnt(0)
	v_cmpx_gt_i64_e64 s[12:13], v[5:6]
	s_cbranch_execz .LBB20_21
; %bb.6:
	s_mul_i32 s1, s17, s8
	s_mul_hi_u32 s2, s16, s8
	s_mul_i32 s0, s16, s8
	s_add_i32 s1, s2, s1
	v_lshlrev_b32_e32 v1, 3, v5
	s_lshl_b64 s[0:1], s[0:1], 3
	v_and_b32_e32 v14, 7, v0
	s_add_u32 s0, s20, s0
	s_addc_u32 s1, s21, s1
	v_mov_b32_e32 v8, v6
	global_load_dwordx4 v[1:4], v1, s[0:1]
	s_clause 0x1
	s_load_dwordx8 s[36:43], s[4:5], 0x58
	s_load_dwordx4 s[44:47], s[4:5], 0x78
	v_lshl_or_b32 v7, s7, 3, v14
	s_mov_b32 s3, 0
	s_mov_b32 s2, exec_lo
	s_waitcnt vmcnt(0)
	v_cmpx_lt_i64_e64 v[1:2], v[3:4]
	s_cbranch_execz .LBB20_14
; %bb.7:
	s_waitcnt lgkmcnt(0)
	v_mad_u64_u32 v[9:10], null, s36, v7, s[26:27]
	v_sub_co_u32 v3, vcc_lo, v3, s47
	v_subrev_co_ci_u32_e64 v4, null, 0, v4, vcc_lo
	v_lshrrev_b32_e32 v13, 3, v0
	v_sub_co_u32 v0, vcc_lo, v1, s47
	v_mov_b32_e32 v6, v10
	s_mul_i32 s1, s19, s8
	s_mul_hi_u32 s4, s18, s8
	s_mul_i32 s5, s18, s8
	s_add_i32 s4, s4, s1
	v_mad_u64_u32 v[10:11], null, s37, v7, v[6:7]
	v_mad_u64_u32 v[11:12], null, s18, s8, v[1:2]
	v_subrev_co_ci_u32_e64 v1, null, 0, v2, vcc_lo
	v_lshl_or_b32 v15, v13, 5, 0x800
	v_mov_b32_e32 v6, 0
	v_mad_u64_u32 v[9:10], null, s38, s8, v[9:10]
	v_add_nc_u32_e32 v2, s1, v12
	v_add_co_u32 v11, vcc_lo, v11, v14
	s_add_u32 s1, s24, s5
	v_lshl_or_b32 v17, v14, 2, v15
	v_add_co_ci_u32_e64 v2, null, 0, v2, vcc_lo
	v_sub_co_u32 v11, s0, v11, s47
	v_cmp_gt_i64_e32 vcc_lo, s[14:15], v[7:8]
	v_subrev_co_ci_u32_e64 v12, null, 0, v2, s0
	v_lshlrev_b32_e32 v2, 6, v13
	v_lshlrev_b64 v[11:12], 3, v[11:12]
	v_lshl_or_b32 v16, v14, 3, v2
	v_mad_u64_u32 v[18:19], null, s39, s8, v[10:11]
	v_add_co_u32 v10, s0, s22, v11
	v_add_co_ci_u32_e64 v11, null, s23, v12, s0
	s_addc_u32 s0, s25, s4
	v_add_co_u32 v19, s1, s1, v14
	v_add_co_ci_u32_e64 v20, null, s0, 0, s1
	s_mov_b32 s4, s47
	s_branch .LBB20_9
.LBB20_8:                               ;   in Loop: Header=BB20_9 Depth=1
	s_or_b32 exec_lo, exec_lo, s1
	v_add_co_u32 v0, s0, v0, 8
	v_add_co_ci_u32_e64 v1, null, 0, v1, s0
	v_add_co_u32 v10, s1, v10, 64
	v_add_co_ci_u32_e64 v11, null, 0, v11, s1
	v_cmp_ge_i64_e64 s0, v[0:1], v[3:4]
	s_or_b32 s3, s0, s3
	s_andn2_b32 exec_lo, exec_lo, s3
	s_cbranch_execz .LBB20_13
.LBB20_9:                               ; =>This Inner Loop Header: Depth=1
	v_add_co_u32 v12, s0, v14, v0
	v_add_co_ci_u32_e64 v13, null, 0, v1, s0
	v_mov_b32_e32 v21, 0
	s_barrier
	v_cmp_lt_i64_e64 s0, v[12:13], v[3:4]
	v_mov_b32_e32 v12, 0
	v_mov_b32_e32 v13, 0
	buffer_gl0_inv
	s_and_saveexec_b32 s1, s0
	s_cbranch_execz .LBB20_11
; %bb.10:                               ;   in Loop: Header=BB20_9 Depth=1
	v_add_co_u32 v12, s0, v19, v0
	v_add_co_ci_u32_e64 v13, null, v20, v1, s0
	global_load_dwordx2 v[21:22], v[10:11], off
	global_load_sbyte v23, v[12:13], off
	s_waitcnt vmcnt(1)
	v_sub_co_u32 v12, s0, v21, s4
	v_subrev_co_ci_u32_e64 v13, null, 0, v22, s0
	s_waitcnt vmcnt(0)
	v_cvt_f32_i32_e32 v21, v23
.LBB20_11:                              ;   in Loop: Header=BB20_9 Depth=1
	s_or_b32 exec_lo, exec_lo, s1
	ds_write_b64 v16, v[12:13]
	ds_write_b32 v17, v21
	s_waitcnt lgkmcnt(0)
	s_barrier
	buffer_gl0_inv
	s_and_saveexec_b32 s1, vcc_lo
	s_cbranch_execz .LBB20_8
; %bb.12:                               ;   in Loop: Header=BB20_9 Depth=1
	ds_read_b128 v[21:24], v2
	ds_read_b128 v[25:28], v2 offset:16
	ds_read_b128 v[29:32], v2 offset:32
	;; [unrolled: 1-line block ×3, first 2 shown]
	s_waitcnt lgkmcnt(3)
	v_add_co_u32 v12, s0, v9, v21
	v_add_co_ci_u32_e64 v13, null, v18, v22, s0
	v_add_co_u32 v21, s0, v9, v23
	v_add_co_ci_u32_e64 v22, null, v18, v24, s0
	s_clause 0x1
	global_load_sbyte v37, v[12:13], off
	global_load_sbyte v38, v[21:22], off
	s_waitcnt lgkmcnt(2)
	v_add_co_u32 v12, s0, v9, v25
	v_add_co_ci_u32_e64 v13, null, v18, v26, s0
	v_add_co_u32 v21, s0, v9, v27
	v_add_co_ci_u32_e64 v22, null, v18, v28, s0
	global_load_sbyte v39, v[12:13], off
	s_waitcnt lgkmcnt(1)
	v_add_co_u32 v12, s0, v9, v29
	v_add_co_ci_u32_e64 v13, null, v18, v30, s0
	s_clause 0x1
	global_load_sbyte v29, v[21:22], off
	global_load_sbyte v30, v[12:13], off
	v_add_co_u32 v21, s0, v9, v31
	v_add_co_ci_u32_e64 v22, null, v18, v32, s0
	s_waitcnt lgkmcnt(0)
	v_add_co_u32 v12, s0, v9, v33
	v_add_co_ci_u32_e64 v13, null, v18, v34, s0
	s_clause 0x1
	global_load_sbyte v31, v[21:22], off
	global_load_sbyte v32, v[12:13], off
	v_add_co_u32 v12, s0, v9, v35
	v_add_co_ci_u32_e64 v13, null, v18, v36, s0
	ds_read_b128 v[21:24], v15
	ds_read_b128 v[25:28], v15 offset:16
	global_load_sbyte v12, v[12:13], off
	s_waitcnt vmcnt(7)
	v_cvt_f32_i32_e32 v13, v37
	s_waitcnt vmcnt(6)
	v_cvt_f32_i32_e32 v33, v38
	s_waitcnt lgkmcnt(1)
	v_fmac_f32_e32 v6, v21, v13
	v_fmac_f32_e32 v6, v22, v33
	s_waitcnt vmcnt(5)
	v_cvt_f32_i32_e32 v13, v39
	s_waitcnt vmcnt(4)
	v_cvt_f32_i32_e32 v21, v29
	v_fmac_f32_e32 v6, v23, v13
	s_waitcnt vmcnt(3)
	v_cvt_f32_i32_e32 v13, v30
	v_fmac_f32_e32 v6, v24, v21
	s_waitcnt lgkmcnt(0)
	v_fmac_f32_e32 v6, v25, v13
	s_waitcnt vmcnt(2)
	v_cvt_f32_i32_e32 v21, v31
	s_waitcnt vmcnt(1)
	v_cvt_f32_i32_e32 v13, v32
	v_fmac_f32_e32 v6, v26, v21
	s_waitcnt vmcnt(0)
	v_cvt_f32_i32_e32 v12, v12
	v_fmac_f32_e32 v6, v27, v13
	v_fmac_f32_e32 v6, v28, v12
	s_branch .LBB20_8
.LBB20_13:
	s_or_b32 exec_lo, exec_lo, s3
.LBB20_14:
	s_or_b32 exec_lo, exec_lo, s2
	v_cmp_gt_i64_e32 vcc_lo, s[14:15], v[7:8]
	s_and_b32 exec_lo, exec_lo, vcc_lo
	s_cbranch_execz .LBB20_21
; %bb.15:
	v_cmp_neq_f32_e64 s0, s30, 0
	v_mul_f32_e32 v0, s28, v6
	s_waitcnt lgkmcnt(0)
	s_cmp_lg_u32 s46, 1
	s_mul_i32 s3, s45, s8
	s_cselect_b32 s2, -1, 0
	s_and_b32 vcc_lo, exec_lo, s0
	s_mul_hi_u32 s4, s44, s8
	s_mul_i32 s0, s44, s8
	s_cbranch_vccz .LBB20_22
; %bb.16:
	s_add_i32 s1, s4, s3
	s_and_b32 vcc_lo, exec_lo, s2
	s_mov_b32 s5, -1
	s_cbranch_vccz .LBB20_18
; %bb.17:
	v_mad_u64_u32 v[1:2], null, s42, v5, 0
	s_lshl_b64 s[6:7], s[0:1], 2
	s_mov_b32 s5, 0
	v_mad_u64_u32 v[2:3], null, s43, v5, v[2:3]
	v_lshlrev_b64 v[3:4], 2, v[7:8]
	v_lshlrev_b64 v[1:2], 2, v[1:2]
	v_add_co_u32 v1, vcc_lo, s40, v1
	v_add_co_ci_u32_e64 v2, null, s41, v2, vcc_lo
	v_add_co_u32 v1, vcc_lo, v1, v3
	v_add_co_ci_u32_e64 v2, null, v2, v4, vcc_lo
	;; [unrolled: 2-line block ×3, first 2 shown]
	global_load_dword v3, v[1:2], off
	s_waitcnt vmcnt(0)
	v_fma_f32 v3, s30, v3, v0
	global_store_dword v[1:2], v3, off
.LBB20_18:
	s_andn2_b32 vcc_lo, exec_lo, s5
	s_cbranch_vccnz .LBB20_20
; %bb.19:
	v_mad_u64_u32 v[1:2], null, s42, v7, 0
	s_lshl_b64 s[6:7], s[0:1], 2
	v_mad_u64_u32 v[2:3], null, s43, v7, v[2:3]
	v_lshlrev_b32_e32 v3, 2, v5
	v_lshlrev_b64 v[1:2], 2, v[1:2]
	v_add_co_u32 v1, vcc_lo, s40, v1
	v_add_co_ci_u32_e64 v2, null, s41, v2, vcc_lo
	v_add_co_u32 v1, vcc_lo, v1, v3
	v_add_co_ci_u32_e64 v2, null, 0, v2, vcc_lo
	;; [unrolled: 2-line block ×3, first 2 shown]
	global_load_dword v3, v[1:2], off
	s_waitcnt vmcnt(0)
	v_fma_f32 v3, s30, v3, v0
	global_store_dword v[1:2], v3, off
.LBB20_20:
	s_cbranch_execz .LBB20_23
.LBB20_21:
	s_endpgm
.LBB20_22:
.LBB20_23:
	s_add_i32 s1, s4, s3
	s_and_b32 vcc_lo, exec_lo, s2
	s_mov_b32 s2, -1
	s_cbranch_vccz .LBB20_25
; %bb.24:
	v_mad_u64_u32 v[1:2], null, s42, v5, 0
	s_lshl_b64 s[2:3], s[0:1], 2
	v_mad_u64_u32 v[2:3], null, s43, v5, v[2:3]
	v_lshlrev_b64 v[3:4], 2, v[7:8]
	v_lshlrev_b64 v[1:2], 2, v[1:2]
	v_add_co_u32 v1, vcc_lo, s40, v1
	v_add_co_ci_u32_e64 v2, null, s41, v2, vcc_lo
	v_add_co_u32 v1, vcc_lo, v1, v3
	v_add_co_ci_u32_e64 v2, null, v2, v4, vcc_lo
	;; [unrolled: 2-line block ×3, first 2 shown]
	s_mov_b32 s2, 0
	global_store_dword v[1:2], v0, off
.LBB20_25:
	s_andn2_b32 vcc_lo, exec_lo, s2
	s_cbranch_vccnz .LBB20_21
; %bb.26:
	v_mad_u64_u32 v[1:2], null, s42, v7, 0
	s_lshl_b64 s[0:1], s[0:1], 2
	v_mad_u64_u32 v[2:3], null, s43, v7, v[2:3]
	v_lshlrev_b32_e32 v3, 2, v5
	v_lshlrev_b64 v[1:2], 2, v[1:2]
	v_add_co_u32 v1, vcc_lo, s40, v1
	v_add_co_ci_u32_e64 v2, null, s41, v2, vcc_lo
	v_add_co_u32 v1, vcc_lo, v1, v3
	v_add_co_ci_u32_e64 v2, null, 0, v2, vcc_lo
	;; [unrolled: 2-line block ×3, first 2 shown]
	global_store_dword v[1:2], v0, off
	s_endpgm
	.section	.rodata,"a",@progbits
	.p2align	6, 0x0
	.amdhsa_kernel _ZN9rocsparse31csrmmnn_row_split_shared_kernelILj256ELj8EfllaafEEvNS_24const_host_device_scalarIT1_EES3_bbbT3_S4_llPKT2_PKS4_PKT4_PKT5_llPT6_ll16rocsparse_order_21rocsparse_index_base_
		.amdhsa_group_segment_fixed_size 3072
		.amdhsa_private_segment_fixed_size 0
		.amdhsa_kernarg_size 136
		.amdhsa_user_sgpr_count 6
		.amdhsa_user_sgpr_private_segment_buffer 1
		.amdhsa_user_sgpr_dispatch_ptr 0
		.amdhsa_user_sgpr_queue_ptr 0
		.amdhsa_user_sgpr_kernarg_segment_ptr 1
		.amdhsa_user_sgpr_dispatch_id 0
		.amdhsa_user_sgpr_flat_scratch_init 0
		.amdhsa_user_sgpr_private_segment_size 0
		.amdhsa_wavefront_size32 1
		.amdhsa_uses_dynamic_stack 0
		.amdhsa_system_sgpr_private_segment_wavefront_offset 0
		.amdhsa_system_sgpr_workgroup_id_x 1
		.amdhsa_system_sgpr_workgroup_id_y 1
		.amdhsa_system_sgpr_workgroup_id_z 1
		.amdhsa_system_sgpr_workgroup_info 0
		.amdhsa_system_vgpr_workitem_id 0
		.amdhsa_next_free_vgpr 40
		.amdhsa_next_free_sgpr 48
		.amdhsa_reserve_vcc 1
		.amdhsa_reserve_flat_scratch 0
		.amdhsa_float_round_mode_32 0
		.amdhsa_float_round_mode_16_64 0
		.amdhsa_float_denorm_mode_32 3
		.amdhsa_float_denorm_mode_16_64 3
		.amdhsa_dx10_clamp 1
		.amdhsa_ieee_mode 1
		.amdhsa_fp16_overflow 0
		.amdhsa_workgroup_processor_mode 1
		.amdhsa_memory_ordered 1
		.amdhsa_forward_progress 1
		.amdhsa_shared_vgpr_count 0
		.amdhsa_exception_fp_ieee_invalid_op 0
		.amdhsa_exception_fp_denorm_src 0
		.amdhsa_exception_fp_ieee_div_zero 0
		.amdhsa_exception_fp_ieee_overflow 0
		.amdhsa_exception_fp_ieee_underflow 0
		.amdhsa_exception_fp_ieee_inexact 0
		.amdhsa_exception_int_div_zero 0
	.end_amdhsa_kernel
	.section	.text._ZN9rocsparse31csrmmnn_row_split_shared_kernelILj256ELj8EfllaafEEvNS_24const_host_device_scalarIT1_EES3_bbbT3_S4_llPKT2_PKS4_PKT4_PKT5_llPT6_ll16rocsparse_order_21rocsparse_index_base_,"axG",@progbits,_ZN9rocsparse31csrmmnn_row_split_shared_kernelILj256ELj8EfllaafEEvNS_24const_host_device_scalarIT1_EES3_bbbT3_S4_llPKT2_PKS4_PKT4_PKT5_llPT6_ll16rocsparse_order_21rocsparse_index_base_,comdat
.Lfunc_end20:
	.size	_ZN9rocsparse31csrmmnn_row_split_shared_kernelILj256ELj8EfllaafEEvNS_24const_host_device_scalarIT1_EES3_bbbT3_S4_llPKT2_PKS4_PKT4_PKT5_llPT6_ll16rocsparse_order_21rocsparse_index_base_, .Lfunc_end20-_ZN9rocsparse31csrmmnn_row_split_shared_kernelILj256ELj8EfllaafEEvNS_24const_host_device_scalarIT1_EES3_bbbT3_S4_llPKT2_PKS4_PKT4_PKT5_llPT6_ll16rocsparse_order_21rocsparse_index_base_
                                        ; -- End function
	.set _ZN9rocsparse31csrmmnn_row_split_shared_kernelILj256ELj8EfllaafEEvNS_24const_host_device_scalarIT1_EES3_bbbT3_S4_llPKT2_PKS4_PKT4_PKT5_llPT6_ll16rocsparse_order_21rocsparse_index_base_.num_vgpr, 40
	.set _ZN9rocsparse31csrmmnn_row_split_shared_kernelILj256ELj8EfllaafEEvNS_24const_host_device_scalarIT1_EES3_bbbT3_S4_llPKT2_PKS4_PKT4_PKT5_llPT6_ll16rocsparse_order_21rocsparse_index_base_.num_agpr, 0
	.set _ZN9rocsparse31csrmmnn_row_split_shared_kernelILj256ELj8EfllaafEEvNS_24const_host_device_scalarIT1_EES3_bbbT3_S4_llPKT2_PKS4_PKT4_PKT5_llPT6_ll16rocsparse_order_21rocsparse_index_base_.numbered_sgpr, 48
	.set _ZN9rocsparse31csrmmnn_row_split_shared_kernelILj256ELj8EfllaafEEvNS_24const_host_device_scalarIT1_EES3_bbbT3_S4_llPKT2_PKS4_PKT4_PKT5_llPT6_ll16rocsparse_order_21rocsparse_index_base_.num_named_barrier, 0
	.set _ZN9rocsparse31csrmmnn_row_split_shared_kernelILj256ELj8EfllaafEEvNS_24const_host_device_scalarIT1_EES3_bbbT3_S4_llPKT2_PKS4_PKT4_PKT5_llPT6_ll16rocsparse_order_21rocsparse_index_base_.private_seg_size, 0
	.set _ZN9rocsparse31csrmmnn_row_split_shared_kernelILj256ELj8EfllaafEEvNS_24const_host_device_scalarIT1_EES3_bbbT3_S4_llPKT2_PKS4_PKT4_PKT5_llPT6_ll16rocsparse_order_21rocsparse_index_base_.uses_vcc, 1
	.set _ZN9rocsparse31csrmmnn_row_split_shared_kernelILj256ELj8EfllaafEEvNS_24const_host_device_scalarIT1_EES3_bbbT3_S4_llPKT2_PKS4_PKT4_PKT5_llPT6_ll16rocsparse_order_21rocsparse_index_base_.uses_flat_scratch, 0
	.set _ZN9rocsparse31csrmmnn_row_split_shared_kernelILj256ELj8EfllaafEEvNS_24const_host_device_scalarIT1_EES3_bbbT3_S4_llPKT2_PKS4_PKT4_PKT5_llPT6_ll16rocsparse_order_21rocsparse_index_base_.has_dyn_sized_stack, 0
	.set _ZN9rocsparse31csrmmnn_row_split_shared_kernelILj256ELj8EfllaafEEvNS_24const_host_device_scalarIT1_EES3_bbbT3_S4_llPKT2_PKS4_PKT4_PKT5_llPT6_ll16rocsparse_order_21rocsparse_index_base_.has_recursion, 0
	.set _ZN9rocsparse31csrmmnn_row_split_shared_kernelILj256ELj8EfllaafEEvNS_24const_host_device_scalarIT1_EES3_bbbT3_S4_llPKT2_PKS4_PKT4_PKT5_llPT6_ll16rocsparse_order_21rocsparse_index_base_.has_indirect_call, 0
	.section	.AMDGPU.csdata,"",@progbits
; Kernel info:
; codeLenInByte = 1600
; TotalNumSgprs: 50
; NumVgprs: 40
; ScratchSize: 0
; MemoryBound: 0
; FloatMode: 240
; IeeeMode: 1
; LDSByteSize: 3072 bytes/workgroup (compile time only)
; SGPRBlocks: 0
; VGPRBlocks: 4
; NumSGPRsForWavesPerEU: 50
; NumVGPRsForWavesPerEU: 40
; Occupancy: 16
; WaveLimiterHint : 0
; COMPUTE_PGM_RSRC2:SCRATCH_EN: 0
; COMPUTE_PGM_RSRC2:USER_SGPR: 6
; COMPUTE_PGM_RSRC2:TRAP_HANDLER: 0
; COMPUTE_PGM_RSRC2:TGID_X_EN: 1
; COMPUTE_PGM_RSRC2:TGID_Y_EN: 1
; COMPUTE_PGM_RSRC2:TGID_Z_EN: 1
; COMPUTE_PGM_RSRC2:TIDIG_COMP_CNT: 0
	.section	.AMDGPU.gpr_maximums,"",@progbits
	.set amdgpu.max_num_vgpr, 0
	.set amdgpu.max_num_agpr, 0
	.set amdgpu.max_num_sgpr, 0
	.section	.AMDGPU.csdata,"",@progbits
	.type	__hip_cuid_688ab7d13d4bebb8,@object ; @__hip_cuid_688ab7d13d4bebb8
	.section	.bss,"aw",@nobits
	.globl	__hip_cuid_688ab7d13d4bebb8
__hip_cuid_688ab7d13d4bebb8:
	.byte	0                               ; 0x0
	.size	__hip_cuid_688ab7d13d4bebb8, 1

	.ident	"AMD clang version 22.0.0git (https://github.com/RadeonOpenCompute/llvm-project roc-7.2.4 26084 f58b06dce1f9c15707c5f808fd002e18c2accf7e)"
	.section	".note.GNU-stack","",@progbits
	.addrsig
	.addrsig_sym __hip_cuid_688ab7d13d4bebb8
	.amdgpu_metadata
---
amdhsa.kernels:
  - .args:
      - .offset:         0
        .size:           8
        .value_kind:     by_value
      - .offset:         8
        .size:           8
        .value_kind:     by_value
      - .offset:         16
        .size:           1
        .value_kind:     by_value
      - .offset:         17
        .size:           1
        .value_kind:     by_value
      - .offset:         18
        .size:           1
        .value_kind:     by_value
      - .offset:         20
        .size:           4
        .value_kind:     by_value
      - .offset:         24
        .size:           4
        .value_kind:     by_value
      - .offset:         32
        .size:           8
        .value_kind:     by_value
      - .offset:         40
        .size:           8
        .value_kind:     by_value
      - .address_space:  global
        .offset:         48
        .size:           8
        .value_kind:     global_buffer
      - .address_space:  global
        .offset:         56
        .size:           8
        .value_kind:     global_buffer
      - .address_space:  global
        .offset:         64
        .size:           8
        .value_kind:     global_buffer
      - .address_space:  global
        .offset:         72
        .size:           8
        .value_kind:     global_buffer
      - .offset:         80
        .size:           8
        .value_kind:     by_value
      - .offset:         88
        .size:           8
        .value_kind:     by_value
      - .address_space:  global
        .offset:         96
        .size:           8
        .value_kind:     global_buffer
      - .offset:         104
        .size:           8
        .value_kind:     by_value
      - .offset:         112
        .size:           8
        .value_kind:     by_value
      - .offset:         120
        .size:           4
        .value_kind:     by_value
      - .offset:         124
        .size:           4
        .value_kind:     by_value
    .group_segment_fixed_size: 2048
    .kernarg_segment_align: 8
    .kernarg_segment_size: 128
    .language:       OpenCL C
    .language_version:
      - 2
      - 0
    .max_flat_workgroup_size: 256
    .name:           _ZN9rocsparse31csrmmnn_row_split_shared_kernelILj256ELj8EfiifffEEvNS_24const_host_device_scalarIT1_EES3_bbbT3_S4_llPKT2_PKS4_PKT4_PKT5_llPT6_ll16rocsparse_order_21rocsparse_index_base_
    .private_segment_fixed_size: 0
    .sgpr_count:     46
    .sgpr_spill_count: 0
    .symbol:         _ZN9rocsparse31csrmmnn_row_split_shared_kernelILj256ELj8EfiifffEEvNS_24const_host_device_scalarIT1_EES3_bbbT3_S4_llPKT2_PKS4_PKT4_PKT5_llPT6_ll16rocsparse_order_21rocsparse_index_base_.kd
    .uniform_work_group_size: 1
    .uses_dynamic_stack: false
    .vgpr_count:     30
    .vgpr_spill_count: 0
    .wavefront_size: 32
    .workgroup_processor_mode: 1
  - .args:
      - .offset:         0
        .size:           8
        .value_kind:     by_value
      - .offset:         8
        .size:           8
        .value_kind:     by_value
      - .offset:         16
        .size:           1
        .value_kind:     by_value
      - .offset:         17
        .size:           1
        .value_kind:     by_value
      - .offset:         18
        .size:           1
        .value_kind:     by_value
      - .offset:         20
        .size:           4
        .value_kind:     by_value
      - .offset:         24
        .size:           4
        .value_kind:     by_value
      - .offset:         32
        .size:           8
        .value_kind:     by_value
      - .offset:         40
        .size:           8
        .value_kind:     by_value
      - .address_space:  global
        .offset:         48
        .size:           8
        .value_kind:     global_buffer
      - .address_space:  global
        .offset:         56
        .size:           8
        .value_kind:     global_buffer
      - .address_space:  global
        .offset:         64
        .size:           8
        .value_kind:     global_buffer
      - .address_space:  global
        .offset:         72
        .size:           8
        .value_kind:     global_buffer
      - .offset:         80
        .size:           8
        .value_kind:     by_value
      - .offset:         88
        .size:           8
        .value_kind:     by_value
      - .address_space:  global
        .offset:         96
        .size:           8
        .value_kind:     global_buffer
      - .offset:         104
        .size:           8
        .value_kind:     by_value
      - .offset:         112
        .size:           8
        .value_kind:     by_value
      - .offset:         120
        .size:           4
        .value_kind:     by_value
      - .offset:         124
        .size:           4
        .value_kind:     by_value
    .group_segment_fixed_size: 2048
    .kernarg_segment_align: 8
    .kernarg_segment_size: 128
    .language:       OpenCL C
    .language_version:
      - 2
      - 0
    .max_flat_workgroup_size: 256
    .name:           _ZN9rocsparse31csrmmnn_row_split_shared_kernelILj256ELj8EflifffEEvNS_24const_host_device_scalarIT1_EES3_bbbT3_S4_llPKT2_PKS4_PKT4_PKT5_llPT6_ll16rocsparse_order_21rocsparse_index_base_
    .private_segment_fixed_size: 0
    .sgpr_count:     46
    .sgpr_spill_count: 0
    .symbol:         _ZN9rocsparse31csrmmnn_row_split_shared_kernelILj256ELj8EflifffEEvNS_24const_host_device_scalarIT1_EES3_bbbT3_S4_llPKT2_PKS4_PKT4_PKT5_llPT6_ll16rocsparse_order_21rocsparse_index_base_.kd
    .uniform_work_group_size: 1
    .uses_dynamic_stack: false
    .vgpr_count:     35
    .vgpr_spill_count: 0
    .wavefront_size: 32
    .workgroup_processor_mode: 1
  - .args:
      - .offset:         0
        .size:           8
        .value_kind:     by_value
      - .offset:         8
        .size:           8
        .value_kind:     by_value
      - .offset:         16
        .size:           1
        .value_kind:     by_value
      - .offset:         17
        .size:           1
        .value_kind:     by_value
      - .offset:         18
        .size:           1
        .value_kind:     by_value
      - .offset:         24
        .size:           8
        .value_kind:     by_value
      - .offset:         32
        .size:           8
        .value_kind:     by_value
      - .offset:         40
        .size:           8
        .value_kind:     by_value
      - .offset:         48
        .size:           8
        .value_kind:     by_value
      - .address_space:  global
        .offset:         56
        .size:           8
        .value_kind:     global_buffer
      - .address_space:  global
        .offset:         64
        .size:           8
        .value_kind:     global_buffer
      - .address_space:  global
        .offset:         72
        .size:           8
        .value_kind:     global_buffer
      - .address_space:  global
        .offset:         80
        .size:           8
        .value_kind:     global_buffer
      - .offset:         88
        .size:           8
        .value_kind:     by_value
      - .offset:         96
        .size:           8
        .value_kind:     by_value
      - .address_space:  global
        .offset:         104
        .size:           8
        .value_kind:     global_buffer
      - .offset:         112
        .size:           8
        .value_kind:     by_value
      - .offset:         120
        .size:           8
        .value_kind:     by_value
      - .offset:         128
        .size:           4
        .value_kind:     by_value
      - .offset:         132
        .size:           4
        .value_kind:     by_value
    .group_segment_fixed_size: 3072
    .kernarg_segment_align: 8
    .kernarg_segment_size: 136
    .language:       OpenCL C
    .language_version:
      - 2
      - 0
    .max_flat_workgroup_size: 256
    .name:           _ZN9rocsparse31csrmmnn_row_split_shared_kernelILj256ELj8EfllfffEEvNS_24const_host_device_scalarIT1_EES3_bbbT3_S4_llPKT2_PKS4_PKT4_PKT5_llPT6_ll16rocsparse_order_21rocsparse_index_base_
    .private_segment_fixed_size: 0
    .sgpr_count:     50
    .sgpr_spill_count: 0
    .symbol:         _ZN9rocsparse31csrmmnn_row_split_shared_kernelILj256ELj8EfllfffEEvNS_24const_host_device_scalarIT1_EES3_bbbT3_S4_llPKT2_PKS4_PKT4_PKT5_llPT6_ll16rocsparse_order_21rocsparse_index_base_.kd
    .uniform_work_group_size: 1
    .uses_dynamic_stack: false
    .vgpr_count:     39
    .vgpr_spill_count: 0
    .wavefront_size: 32
    .workgroup_processor_mode: 1
  - .args:
      - .offset:         0
        .size:           8
        .value_kind:     by_value
      - .offset:         8
        .size:           8
        .value_kind:     by_value
      - .offset:         16
        .size:           1
        .value_kind:     by_value
      - .offset:         17
        .size:           1
        .value_kind:     by_value
      - .offset:         18
        .size:           1
        .value_kind:     by_value
      - .offset:         20
        .size:           4
        .value_kind:     by_value
      - .offset:         24
        .size:           4
        .value_kind:     by_value
      - .offset:         32
        .size:           8
        .value_kind:     by_value
      - .offset:         40
        .size:           8
        .value_kind:     by_value
      - .address_space:  global
        .offset:         48
        .size:           8
        .value_kind:     global_buffer
      - .address_space:  global
        .offset:         56
        .size:           8
        .value_kind:     global_buffer
      - .address_space:  global
        .offset:         64
        .size:           8
        .value_kind:     global_buffer
      - .address_space:  global
        .offset:         72
        .size:           8
        .value_kind:     global_buffer
      - .offset:         80
        .size:           8
        .value_kind:     by_value
      - .offset:         88
        .size:           8
        .value_kind:     by_value
      - .address_space:  global
        .offset:         96
        .size:           8
        .value_kind:     global_buffer
      - .offset:         104
        .size:           8
        .value_kind:     by_value
      - .offset:         112
        .size:           8
        .value_kind:     by_value
      - .offset:         120
        .size:           4
        .value_kind:     by_value
      - .offset:         124
        .size:           4
        .value_kind:     by_value
    .group_segment_fixed_size: 3072
    .kernarg_segment_align: 8
    .kernarg_segment_size: 128
    .language:       OpenCL C
    .language_version:
      - 2
      - 0
    .max_flat_workgroup_size: 256
    .name:           _ZN9rocsparse31csrmmnn_row_split_shared_kernelILj256ELj8EdiidddEEvNS_24const_host_device_scalarIT1_EES3_bbbT3_S4_llPKT2_PKS4_PKT4_PKT5_llPT6_ll16rocsparse_order_21rocsparse_index_base_
    .private_segment_fixed_size: 0
    .sgpr_count:     34
    .sgpr_spill_count: 0
    .symbol:         _ZN9rocsparse31csrmmnn_row_split_shared_kernelILj256ELj8EdiidddEEvNS_24const_host_device_scalarIT1_EES3_bbbT3_S4_llPKT2_PKS4_PKT4_PKT5_llPT6_ll16rocsparse_order_21rocsparse_index_base_.kd
    .uniform_work_group_size: 1
    .uses_dynamic_stack: false
    .vgpr_count:     42
    .vgpr_spill_count: 0
    .wavefront_size: 32
    .workgroup_processor_mode: 1
  - .args:
      - .offset:         0
        .size:           8
        .value_kind:     by_value
      - .offset:         8
        .size:           8
        .value_kind:     by_value
      - .offset:         16
        .size:           1
        .value_kind:     by_value
      - .offset:         17
        .size:           1
        .value_kind:     by_value
      - .offset:         18
        .size:           1
        .value_kind:     by_value
      - .offset:         20
        .size:           4
        .value_kind:     by_value
      - .offset:         24
        .size:           4
        .value_kind:     by_value
      - .offset:         32
        .size:           8
        .value_kind:     by_value
      - .offset:         40
        .size:           8
        .value_kind:     by_value
      - .address_space:  global
        .offset:         48
        .size:           8
        .value_kind:     global_buffer
      - .address_space:  global
        .offset:         56
        .size:           8
        .value_kind:     global_buffer
      - .address_space:  global
        .offset:         64
        .size:           8
        .value_kind:     global_buffer
      - .address_space:  global
        .offset:         72
        .size:           8
        .value_kind:     global_buffer
      - .offset:         80
        .size:           8
        .value_kind:     by_value
      - .offset:         88
        .size:           8
        .value_kind:     by_value
      - .address_space:  global
        .offset:         96
        .size:           8
        .value_kind:     global_buffer
      - .offset:         104
        .size:           8
        .value_kind:     by_value
      - .offset:         112
        .size:           8
        .value_kind:     by_value
      - .offset:         120
        .size:           4
        .value_kind:     by_value
      - .offset:         124
        .size:           4
        .value_kind:     by_value
    .group_segment_fixed_size: 3072
    .kernarg_segment_align: 8
    .kernarg_segment_size: 128
    .language:       OpenCL C
    .language_version:
      - 2
      - 0
    .max_flat_workgroup_size: 256
    .name:           _ZN9rocsparse31csrmmnn_row_split_shared_kernelILj256ELj8EdlidddEEvNS_24const_host_device_scalarIT1_EES3_bbbT3_S4_llPKT2_PKS4_PKT4_PKT5_llPT6_ll16rocsparse_order_21rocsparse_index_base_
    .private_segment_fixed_size: 0
    .sgpr_count:     34
    .sgpr_spill_count: 0
    .symbol:         _ZN9rocsparse31csrmmnn_row_split_shared_kernelILj256ELj8EdlidddEEvNS_24const_host_device_scalarIT1_EES3_bbbT3_S4_llPKT2_PKS4_PKT4_PKT5_llPT6_ll16rocsparse_order_21rocsparse_index_base_.kd
    .uniform_work_group_size: 1
    .uses_dynamic_stack: false
    .vgpr_count:     49
    .vgpr_spill_count: 0
    .wavefront_size: 32
    .workgroup_processor_mode: 1
  - .args:
      - .offset:         0
        .size:           8
        .value_kind:     by_value
      - .offset:         8
        .size:           8
        .value_kind:     by_value
      - .offset:         16
        .size:           1
        .value_kind:     by_value
      - .offset:         17
        .size:           1
        .value_kind:     by_value
      - .offset:         18
        .size:           1
        .value_kind:     by_value
      - .offset:         24
        .size:           8
        .value_kind:     by_value
      - .offset:         32
        .size:           8
        .value_kind:     by_value
      - .offset:         40
        .size:           8
        .value_kind:     by_value
      - .offset:         48
        .size:           8
        .value_kind:     by_value
      - .address_space:  global
        .offset:         56
        .size:           8
        .value_kind:     global_buffer
      - .address_space:  global
        .offset:         64
        .size:           8
        .value_kind:     global_buffer
      - .address_space:  global
        .offset:         72
        .size:           8
        .value_kind:     global_buffer
      - .address_space:  global
        .offset:         80
        .size:           8
        .value_kind:     global_buffer
      - .offset:         88
        .size:           8
        .value_kind:     by_value
      - .offset:         96
        .size:           8
        .value_kind:     by_value
      - .address_space:  global
        .offset:         104
        .size:           8
        .value_kind:     global_buffer
      - .offset:         112
        .size:           8
        .value_kind:     by_value
      - .offset:         120
        .size:           8
        .value_kind:     by_value
      - .offset:         128
        .size:           4
        .value_kind:     by_value
      - .offset:         132
        .size:           4
        .value_kind:     by_value
    .group_segment_fixed_size: 4096
    .kernarg_segment_align: 8
    .kernarg_segment_size: 136
    .language:       OpenCL C
    .language_version:
      - 2
      - 0
    .max_flat_workgroup_size: 256
    .name:           _ZN9rocsparse31csrmmnn_row_split_shared_kernelILj256ELj8EdlldddEEvNS_24const_host_device_scalarIT1_EES3_bbbT3_S4_llPKT2_PKS4_PKT4_PKT5_llPT6_ll16rocsparse_order_21rocsparse_index_base_
    .private_segment_fixed_size: 0
    .sgpr_count:     46
    .sgpr_spill_count: 0
    .symbol:         _ZN9rocsparse31csrmmnn_row_split_shared_kernelILj256ELj8EdlldddEEvNS_24const_host_device_scalarIT1_EES3_bbbT3_S4_llPKT2_PKS4_PKT4_PKT5_llPT6_ll16rocsparse_order_21rocsparse_index_base_.kd
    .uniform_work_group_size: 1
    .uses_dynamic_stack: false
    .vgpr_count:     49
    .vgpr_spill_count: 0
    .wavefront_size: 32
    .workgroup_processor_mode: 1
  - .args:
      - .offset:         0
        .size:           8
        .value_kind:     by_value
      - .offset:         8
        .size:           8
        .value_kind:     by_value
      - .offset:         16
        .size:           1
        .value_kind:     by_value
      - .offset:         17
        .size:           1
        .value_kind:     by_value
      - .offset:         18
        .size:           1
        .value_kind:     by_value
      - .offset:         20
        .size:           4
        .value_kind:     by_value
      - .offset:         24
        .size:           4
        .value_kind:     by_value
      - .offset:         32
        .size:           8
        .value_kind:     by_value
      - .offset:         40
        .size:           8
        .value_kind:     by_value
      - .address_space:  global
        .offset:         48
        .size:           8
        .value_kind:     global_buffer
      - .address_space:  global
        .offset:         56
        .size:           8
        .value_kind:     global_buffer
      - .address_space:  global
        .offset:         64
        .size:           8
        .value_kind:     global_buffer
      - .address_space:  global
        .offset:         72
        .size:           8
        .value_kind:     global_buffer
      - .offset:         80
        .size:           8
        .value_kind:     by_value
      - .offset:         88
        .size:           8
        .value_kind:     by_value
      - .address_space:  global
        .offset:         96
        .size:           8
        .value_kind:     global_buffer
      - .offset:         104
        .size:           8
        .value_kind:     by_value
      - .offset:         112
        .size:           8
        .value_kind:     by_value
      - .offset:         120
        .size:           4
        .value_kind:     by_value
      - .offset:         124
        .size:           4
        .value_kind:     by_value
    .group_segment_fixed_size: 3072
    .kernarg_segment_align: 8
    .kernarg_segment_size: 128
    .language:       OpenCL C
    .language_version:
      - 2
      - 0
    .max_flat_workgroup_size: 256
    .name:           _ZN9rocsparse31csrmmnn_row_split_shared_kernelILj256ELj8E21rocsparse_complex_numIfEiiS2_S2_S2_EEvNS_24const_host_device_scalarIT1_EES5_bbbT3_S6_llPKT2_PKS6_PKT4_PKT5_llPT6_ll16rocsparse_order_21rocsparse_index_base_
    .private_segment_fixed_size: 0
    .sgpr_count:     30
    .sgpr_spill_count: 0
    .symbol:         _ZN9rocsparse31csrmmnn_row_split_shared_kernelILj256ELj8E21rocsparse_complex_numIfEiiS2_S2_S2_EEvNS_24const_host_device_scalarIT1_EES5_bbbT3_S6_llPKT2_PKS6_PKT4_PKT5_llPT6_ll16rocsparse_order_21rocsparse_index_base_.kd
    .uniform_work_group_size: 1
    .uses_dynamic_stack: false
    .vgpr_count:     42
    .vgpr_spill_count: 0
    .wavefront_size: 32
    .workgroup_processor_mode: 1
  - .args:
      - .offset:         0
        .size:           8
        .value_kind:     by_value
      - .offset:         8
        .size:           8
        .value_kind:     by_value
      - .offset:         16
        .size:           1
        .value_kind:     by_value
      - .offset:         17
        .size:           1
        .value_kind:     by_value
      - .offset:         18
        .size:           1
        .value_kind:     by_value
      - .offset:         20
        .size:           4
        .value_kind:     by_value
      - .offset:         24
        .size:           4
        .value_kind:     by_value
      - .offset:         32
        .size:           8
        .value_kind:     by_value
      - .offset:         40
        .size:           8
        .value_kind:     by_value
      - .address_space:  global
        .offset:         48
        .size:           8
        .value_kind:     global_buffer
      - .address_space:  global
        .offset:         56
        .size:           8
        .value_kind:     global_buffer
      - .address_space:  global
        .offset:         64
        .size:           8
        .value_kind:     global_buffer
      - .address_space:  global
        .offset:         72
        .size:           8
        .value_kind:     global_buffer
      - .offset:         80
        .size:           8
        .value_kind:     by_value
      - .offset:         88
        .size:           8
        .value_kind:     by_value
      - .address_space:  global
        .offset:         96
        .size:           8
        .value_kind:     global_buffer
      - .offset:         104
        .size:           8
        .value_kind:     by_value
      - .offset:         112
        .size:           8
        .value_kind:     by_value
      - .offset:         120
        .size:           4
        .value_kind:     by_value
      - .offset:         124
        .size:           4
        .value_kind:     by_value
    .group_segment_fixed_size: 3072
    .kernarg_segment_align: 8
    .kernarg_segment_size: 128
    .language:       OpenCL C
    .language_version:
      - 2
      - 0
    .max_flat_workgroup_size: 256
    .name:           _ZN9rocsparse31csrmmnn_row_split_shared_kernelILj256ELj8E21rocsparse_complex_numIfEliS2_S2_S2_EEvNS_24const_host_device_scalarIT1_EES5_bbbT3_S6_llPKT2_PKS6_PKT4_PKT5_llPT6_ll16rocsparse_order_21rocsparse_index_base_
    .private_segment_fixed_size: 0
    .sgpr_count:     34
    .sgpr_spill_count: 0
    .symbol:         _ZN9rocsparse31csrmmnn_row_split_shared_kernelILj256ELj8E21rocsparse_complex_numIfEliS2_S2_S2_EEvNS_24const_host_device_scalarIT1_EES5_bbbT3_S6_llPKT2_PKS6_PKT4_PKT5_llPT6_ll16rocsparse_order_21rocsparse_index_base_.kd
    .uniform_work_group_size: 1
    .uses_dynamic_stack: false
    .vgpr_count:     49
    .vgpr_spill_count: 0
    .wavefront_size: 32
    .workgroup_processor_mode: 1
  - .args:
      - .offset:         0
        .size:           8
        .value_kind:     by_value
      - .offset:         8
        .size:           8
        .value_kind:     by_value
      - .offset:         16
        .size:           1
        .value_kind:     by_value
      - .offset:         17
        .size:           1
        .value_kind:     by_value
      - .offset:         18
        .size:           1
        .value_kind:     by_value
      - .offset:         24
        .size:           8
        .value_kind:     by_value
      - .offset:         32
        .size:           8
        .value_kind:     by_value
      - .offset:         40
        .size:           8
        .value_kind:     by_value
      - .offset:         48
        .size:           8
        .value_kind:     by_value
      - .address_space:  global
        .offset:         56
        .size:           8
        .value_kind:     global_buffer
      - .address_space:  global
        .offset:         64
        .size:           8
        .value_kind:     global_buffer
      - .address_space:  global
        .offset:         72
        .size:           8
        .value_kind:     global_buffer
      - .address_space:  global
        .offset:         80
        .size:           8
        .value_kind:     global_buffer
      - .offset:         88
        .size:           8
        .value_kind:     by_value
      - .offset:         96
        .size:           8
        .value_kind:     by_value
      - .address_space:  global
        .offset:         104
        .size:           8
        .value_kind:     global_buffer
      - .offset:         112
        .size:           8
        .value_kind:     by_value
      - .offset:         120
        .size:           8
        .value_kind:     by_value
      - .offset:         128
        .size:           4
        .value_kind:     by_value
      - .offset:         132
        .size:           4
        .value_kind:     by_value
    .group_segment_fixed_size: 4096
    .kernarg_segment_align: 8
    .kernarg_segment_size: 136
    .language:       OpenCL C
    .language_version:
      - 2
      - 0
    .max_flat_workgroup_size: 256
    .name:           _ZN9rocsparse31csrmmnn_row_split_shared_kernelILj256ELj8E21rocsparse_complex_numIfEllS2_S2_S2_EEvNS_24const_host_device_scalarIT1_EES5_bbbT3_S6_llPKT2_PKS6_PKT4_PKT5_llPT6_ll16rocsparse_order_21rocsparse_index_base_
    .private_segment_fixed_size: 0
    .sgpr_count:     46
    .sgpr_spill_count: 0
    .symbol:         _ZN9rocsparse31csrmmnn_row_split_shared_kernelILj256ELj8E21rocsparse_complex_numIfEllS2_S2_S2_EEvNS_24const_host_device_scalarIT1_EES5_bbbT3_S6_llPKT2_PKS6_PKT4_PKT5_llPT6_ll16rocsparse_order_21rocsparse_index_base_.kd
    .uniform_work_group_size: 1
    .uses_dynamic_stack: false
    .vgpr_count:     49
    .vgpr_spill_count: 0
    .wavefront_size: 32
    .workgroup_processor_mode: 1
  - .args:
      - .offset:         0
        .size:           16
        .value_kind:     by_value
      - .offset:         16
        .size:           16
        .value_kind:     by_value
      - .offset:         32
        .size:           1
        .value_kind:     by_value
      - .offset:         33
        .size:           1
        .value_kind:     by_value
      - .offset:         34
        .size:           1
        .value_kind:     by_value
      - .offset:         36
        .size:           4
        .value_kind:     by_value
      - .offset:         40
        .size:           4
        .value_kind:     by_value
      - .offset:         48
        .size:           8
        .value_kind:     by_value
      - .offset:         56
        .size:           8
        .value_kind:     by_value
      - .address_space:  global
        .offset:         64
        .size:           8
        .value_kind:     global_buffer
      - .address_space:  global
        .offset:         72
        .size:           8
        .value_kind:     global_buffer
      - .address_space:  global
        .offset:         80
        .size:           8
        .value_kind:     global_buffer
      - .address_space:  global
        .offset:         88
        .size:           8
        .value_kind:     global_buffer
      - .offset:         96
        .size:           8
        .value_kind:     by_value
      - .offset:         104
        .size:           8
        .value_kind:     by_value
      - .address_space:  global
        .offset:         112
        .size:           8
        .value_kind:     global_buffer
      - .offset:         120
        .size:           8
        .value_kind:     by_value
      - .offset:         128
        .size:           8
        .value_kind:     by_value
      - .offset:         136
        .size:           4
        .value_kind:     by_value
      - .offset:         140
        .size:           4
        .value_kind:     by_value
    .group_segment_fixed_size: 5120
    .kernarg_segment_align: 8
    .kernarg_segment_size: 144
    .language:       OpenCL C
    .language_version:
      - 2
      - 0
    .max_flat_workgroup_size: 256
    .name:           _ZN9rocsparse31csrmmnn_row_split_shared_kernelILj256ELj8E21rocsparse_complex_numIdEiiS2_S2_S2_EEvNS_24const_host_device_scalarIT1_EES5_bbbT3_S6_llPKT2_PKS6_PKT4_PKT5_llPT6_ll16rocsparse_order_21rocsparse_index_base_
    .private_segment_fixed_size: 0
    .sgpr_count:     34
    .sgpr_spill_count: 0
    .symbol:         _ZN9rocsparse31csrmmnn_row_split_shared_kernelILj256ELj8E21rocsparse_complex_numIdEiiS2_S2_S2_EEvNS_24const_host_device_scalarIT1_EES5_bbbT3_S6_llPKT2_PKS6_PKT4_PKT5_llPT6_ll16rocsparse_order_21rocsparse_index_base_.kd
    .uniform_work_group_size: 1
    .uses_dynamic_stack: false
    .vgpr_count:     65
    .vgpr_spill_count: 0
    .wavefront_size: 32
    .workgroup_processor_mode: 1
  - .args:
      - .offset:         0
        .size:           16
        .value_kind:     by_value
      - .offset:         16
        .size:           16
        .value_kind:     by_value
      - .offset:         32
        .size:           1
        .value_kind:     by_value
      - .offset:         33
        .size:           1
        .value_kind:     by_value
      - .offset:         34
        .size:           1
        .value_kind:     by_value
      - .offset:         36
        .size:           4
        .value_kind:     by_value
      - .offset:         40
        .size:           4
        .value_kind:     by_value
      - .offset:         48
        .size:           8
        .value_kind:     by_value
      - .offset:         56
        .size:           8
        .value_kind:     by_value
      - .address_space:  global
        .offset:         64
        .size:           8
        .value_kind:     global_buffer
      - .address_space:  global
        .offset:         72
        .size:           8
        .value_kind:     global_buffer
      - .address_space:  global
        .offset:         80
        .size:           8
        .value_kind:     global_buffer
      - .address_space:  global
        .offset:         88
        .size:           8
        .value_kind:     global_buffer
      - .offset:         96
        .size:           8
        .value_kind:     by_value
      - .offset:         104
        .size:           8
        .value_kind:     by_value
      - .address_space:  global
        .offset:         112
        .size:           8
        .value_kind:     global_buffer
      - .offset:         120
        .size:           8
        .value_kind:     by_value
      - .offset:         128
        .size:           8
        .value_kind:     by_value
      - .offset:         136
        .size:           4
        .value_kind:     by_value
      - .offset:         140
        .size:           4
        .value_kind:     by_value
    .group_segment_fixed_size: 5120
    .kernarg_segment_align: 8
    .kernarg_segment_size: 144
    .language:       OpenCL C
    .language_version:
      - 2
      - 0
    .max_flat_workgroup_size: 256
    .name:           _ZN9rocsparse31csrmmnn_row_split_shared_kernelILj256ELj8E21rocsparse_complex_numIdEliS2_S2_S2_EEvNS_24const_host_device_scalarIT1_EES5_bbbT3_S6_llPKT2_PKS6_PKT4_PKT5_llPT6_ll16rocsparse_order_21rocsparse_index_base_
    .private_segment_fixed_size: 0
    .sgpr_count:     34
    .sgpr_spill_count: 0
    .symbol:         _ZN9rocsparse31csrmmnn_row_split_shared_kernelILj256ELj8E21rocsparse_complex_numIdEliS2_S2_S2_EEvNS_24const_host_device_scalarIT1_EES5_bbbT3_S6_llPKT2_PKS6_PKT4_PKT5_llPT6_ll16rocsparse_order_21rocsparse_index_base_.kd
    .uniform_work_group_size: 1
    .uses_dynamic_stack: false
    .vgpr_count:     71
    .vgpr_spill_count: 0
    .wavefront_size: 32
    .workgroup_processor_mode: 1
  - .args:
      - .offset:         0
        .size:           16
        .value_kind:     by_value
      - .offset:         16
        .size:           16
        .value_kind:     by_value
      - .offset:         32
        .size:           1
        .value_kind:     by_value
      - .offset:         33
        .size:           1
        .value_kind:     by_value
      - .offset:         34
        .size:           1
        .value_kind:     by_value
      - .offset:         40
        .size:           8
        .value_kind:     by_value
      - .offset:         48
        .size:           8
        .value_kind:     by_value
      - .offset:         56
        .size:           8
        .value_kind:     by_value
      - .offset:         64
        .size:           8
        .value_kind:     by_value
      - .address_space:  global
        .offset:         72
        .size:           8
        .value_kind:     global_buffer
      - .address_space:  global
        .offset:         80
        .size:           8
        .value_kind:     global_buffer
      - .address_space:  global
        .offset:         88
        .size:           8
        .value_kind:     global_buffer
      - .address_space:  global
        .offset:         96
        .size:           8
        .value_kind:     global_buffer
      - .offset:         104
        .size:           8
        .value_kind:     by_value
      - .offset:         112
        .size:           8
        .value_kind:     by_value
      - .address_space:  global
        .offset:         120
        .size:           8
        .value_kind:     global_buffer
      - .offset:         128
        .size:           8
        .value_kind:     by_value
      - .offset:         136
        .size:           8
        .value_kind:     by_value
      - .offset:         144
        .size:           4
        .value_kind:     by_value
      - .offset:         148
        .size:           4
        .value_kind:     by_value
    .group_segment_fixed_size: 6144
    .kernarg_segment_align: 8
    .kernarg_segment_size: 152
    .language:       OpenCL C
    .language_version:
      - 2
      - 0
    .max_flat_workgroup_size: 256
    .name:           _ZN9rocsparse31csrmmnn_row_split_shared_kernelILj256ELj8E21rocsparse_complex_numIdEllS2_S2_S2_EEvNS_24const_host_device_scalarIT1_EES5_bbbT3_S6_llPKT2_PKS6_PKT4_PKT5_llPT6_ll16rocsparse_order_21rocsparse_index_base_
    .private_segment_fixed_size: 0
    .sgpr_count:     46
    .sgpr_spill_count: 0
    .symbol:         _ZN9rocsparse31csrmmnn_row_split_shared_kernelILj256ELj8E21rocsparse_complex_numIdEllS2_S2_S2_EEvNS_24const_host_device_scalarIT1_EES5_bbbT3_S6_llPKT2_PKS6_PKT4_PKT5_llPT6_ll16rocsparse_order_21rocsparse_index_base_.kd
    .uniform_work_group_size: 1
    .uses_dynamic_stack: false
    .vgpr_count:     73
    .vgpr_spill_count: 0
    .wavefront_size: 32
    .workgroup_processor_mode: 1
  - .args:
      - .offset:         0
        .size:           8
        .value_kind:     by_value
      - .offset:         8
        .size:           8
        .value_kind:     by_value
      - .offset:         16
        .size:           1
        .value_kind:     by_value
      - .offset:         17
        .size:           1
        .value_kind:     by_value
      - .offset:         18
        .size:           1
        .value_kind:     by_value
      - .offset:         20
        .size:           4
        .value_kind:     by_value
      - .offset:         24
        .size:           4
        .value_kind:     by_value
      - .offset:         32
        .size:           8
        .value_kind:     by_value
      - .offset:         40
        .size:           8
        .value_kind:     by_value
      - .address_space:  global
        .offset:         48
        .size:           8
        .value_kind:     global_buffer
      - .address_space:  global
        .offset:         56
        .size:           8
        .value_kind:     global_buffer
      - .address_space:  global
        .offset:         64
        .size:           8
        .value_kind:     global_buffer
      - .address_space:  global
        .offset:         72
        .size:           8
        .value_kind:     global_buffer
      - .offset:         80
        .size:           8
        .value_kind:     by_value
      - .offset:         88
        .size:           8
        .value_kind:     by_value
      - .address_space:  global
        .offset:         96
        .size:           8
        .value_kind:     global_buffer
      - .offset:         104
        .size:           8
        .value_kind:     by_value
      - .offset:         112
        .size:           8
        .value_kind:     by_value
      - .offset:         120
        .size:           4
        .value_kind:     by_value
      - .offset:         124
        .size:           4
        .value_kind:     by_value
    .group_segment_fixed_size: 2048
    .kernarg_segment_align: 8
    .kernarg_segment_size: 128
    .language:       OpenCL C
    .language_version:
      - 2
      - 0
    .max_flat_workgroup_size: 256
    .name:           _ZN9rocsparse31csrmmnn_row_split_shared_kernelILj256ELj8EfiiDF16_DF16_fEEvNS_24const_host_device_scalarIT1_EES3_bbbT3_S4_llPKT2_PKS4_PKT4_PKT5_llPT6_ll16rocsparse_order_21rocsparse_index_base_
    .private_segment_fixed_size: 0
    .sgpr_count:     46
    .sgpr_spill_count: 0
    .symbol:         _ZN9rocsparse31csrmmnn_row_split_shared_kernelILj256ELj8EfiiDF16_DF16_fEEvNS_24const_host_device_scalarIT1_EES3_bbbT3_S4_llPKT2_PKS4_PKT4_PKT5_llPT6_ll16rocsparse_order_21rocsparse_index_base_.kd
    .uniform_work_group_size: 1
    .uses_dynamic_stack: false
    .vgpr_count:     30
    .vgpr_spill_count: 0
    .wavefront_size: 32
    .workgroup_processor_mode: 1
  - .args:
      - .offset:         0
        .size:           8
        .value_kind:     by_value
      - .offset:         8
        .size:           8
        .value_kind:     by_value
      - .offset:         16
        .size:           1
        .value_kind:     by_value
      - .offset:         17
        .size:           1
        .value_kind:     by_value
      - .offset:         18
        .size:           1
        .value_kind:     by_value
      - .offset:         20
        .size:           4
        .value_kind:     by_value
      - .offset:         24
        .size:           4
        .value_kind:     by_value
      - .offset:         32
        .size:           8
        .value_kind:     by_value
      - .offset:         40
        .size:           8
        .value_kind:     by_value
      - .address_space:  global
        .offset:         48
        .size:           8
        .value_kind:     global_buffer
      - .address_space:  global
        .offset:         56
        .size:           8
        .value_kind:     global_buffer
      - .address_space:  global
        .offset:         64
        .size:           8
        .value_kind:     global_buffer
      - .address_space:  global
        .offset:         72
        .size:           8
        .value_kind:     global_buffer
      - .offset:         80
        .size:           8
        .value_kind:     by_value
      - .offset:         88
        .size:           8
        .value_kind:     by_value
      - .address_space:  global
        .offset:         96
        .size:           8
        .value_kind:     global_buffer
      - .offset:         104
        .size:           8
        .value_kind:     by_value
      - .offset:         112
        .size:           8
        .value_kind:     by_value
      - .offset:         120
        .size:           4
        .value_kind:     by_value
      - .offset:         124
        .size:           4
        .value_kind:     by_value
    .group_segment_fixed_size: 2048
    .kernarg_segment_align: 8
    .kernarg_segment_size: 128
    .language:       OpenCL C
    .language_version:
      - 2
      - 0
    .max_flat_workgroup_size: 256
    .name:           _ZN9rocsparse31csrmmnn_row_split_shared_kernelILj256ELj8EfliDF16_DF16_fEEvNS_24const_host_device_scalarIT1_EES3_bbbT3_S4_llPKT2_PKS4_PKT4_PKT5_llPT6_ll16rocsparse_order_21rocsparse_index_base_
    .private_segment_fixed_size: 0
    .sgpr_count:     46
    .sgpr_spill_count: 0
    .symbol:         _ZN9rocsparse31csrmmnn_row_split_shared_kernelILj256ELj8EfliDF16_DF16_fEEvNS_24const_host_device_scalarIT1_EES3_bbbT3_S4_llPKT2_PKS4_PKT4_PKT5_llPT6_ll16rocsparse_order_21rocsparse_index_base_.kd
    .uniform_work_group_size: 1
    .uses_dynamic_stack: false
    .vgpr_count:     35
    .vgpr_spill_count: 0
    .wavefront_size: 32
    .workgroup_processor_mode: 1
  - .args:
      - .offset:         0
        .size:           8
        .value_kind:     by_value
      - .offset:         8
        .size:           8
        .value_kind:     by_value
      - .offset:         16
        .size:           1
        .value_kind:     by_value
      - .offset:         17
        .size:           1
        .value_kind:     by_value
      - .offset:         18
        .size:           1
        .value_kind:     by_value
      - .offset:         24
        .size:           8
        .value_kind:     by_value
      - .offset:         32
        .size:           8
        .value_kind:     by_value
      - .offset:         40
        .size:           8
        .value_kind:     by_value
      - .offset:         48
        .size:           8
        .value_kind:     by_value
      - .address_space:  global
        .offset:         56
        .size:           8
        .value_kind:     global_buffer
      - .address_space:  global
        .offset:         64
        .size:           8
        .value_kind:     global_buffer
      - .address_space:  global
        .offset:         72
        .size:           8
        .value_kind:     global_buffer
      - .address_space:  global
        .offset:         80
        .size:           8
        .value_kind:     global_buffer
      - .offset:         88
        .size:           8
        .value_kind:     by_value
      - .offset:         96
        .size:           8
        .value_kind:     by_value
      - .address_space:  global
        .offset:         104
        .size:           8
        .value_kind:     global_buffer
      - .offset:         112
        .size:           8
        .value_kind:     by_value
      - .offset:         120
        .size:           8
        .value_kind:     by_value
      - .offset:         128
        .size:           4
        .value_kind:     by_value
      - .offset:         132
        .size:           4
        .value_kind:     by_value
    .group_segment_fixed_size: 3072
    .kernarg_segment_align: 8
    .kernarg_segment_size: 136
    .language:       OpenCL C
    .language_version:
      - 2
      - 0
    .max_flat_workgroup_size: 256
    .name:           _ZN9rocsparse31csrmmnn_row_split_shared_kernelILj256ELj8EfllDF16_DF16_fEEvNS_24const_host_device_scalarIT1_EES3_bbbT3_S4_llPKT2_PKS4_PKT4_PKT5_llPT6_ll16rocsparse_order_21rocsparse_index_base_
    .private_segment_fixed_size: 0
    .sgpr_count:     50
    .sgpr_spill_count: 0
    .symbol:         _ZN9rocsparse31csrmmnn_row_split_shared_kernelILj256ELj8EfllDF16_DF16_fEEvNS_24const_host_device_scalarIT1_EES3_bbbT3_S4_llPKT2_PKS4_PKT4_PKT5_llPT6_ll16rocsparse_order_21rocsparse_index_base_.kd
    .uniform_work_group_size: 1
    .uses_dynamic_stack: false
    .vgpr_count:     39
    .vgpr_spill_count: 0
    .wavefront_size: 32
    .workgroup_processor_mode: 1
  - .args:
      - .offset:         0
        .size:           8
        .value_kind:     by_value
      - .offset:         8
        .size:           8
        .value_kind:     by_value
      - .offset:         16
        .size:           1
        .value_kind:     by_value
      - .offset:         17
        .size:           1
        .value_kind:     by_value
      - .offset:         18
        .size:           1
        .value_kind:     by_value
      - .offset:         20
        .size:           4
        .value_kind:     by_value
      - .offset:         24
        .size:           4
        .value_kind:     by_value
      - .offset:         32
        .size:           8
        .value_kind:     by_value
      - .offset:         40
        .size:           8
        .value_kind:     by_value
      - .address_space:  global
        .offset:         48
        .size:           8
        .value_kind:     global_buffer
      - .address_space:  global
        .offset:         56
        .size:           8
        .value_kind:     global_buffer
      - .address_space:  global
        .offset:         64
        .size:           8
        .value_kind:     global_buffer
      - .address_space:  global
        .offset:         72
        .size:           8
        .value_kind:     global_buffer
      - .offset:         80
        .size:           8
        .value_kind:     by_value
      - .offset:         88
        .size:           8
        .value_kind:     by_value
      - .address_space:  global
        .offset:         96
        .size:           8
        .value_kind:     global_buffer
      - .offset:         104
        .size:           8
        .value_kind:     by_value
      - .offset:         112
        .size:           8
        .value_kind:     by_value
      - .offset:         120
        .size:           4
        .value_kind:     by_value
      - .offset:         124
        .size:           4
        .value_kind:     by_value
    .group_segment_fixed_size: 2048
    .kernarg_segment_align: 8
    .kernarg_segment_size: 128
    .language:       OpenCL C
    .language_version:
      - 2
      - 0
    .max_flat_workgroup_size: 256
    .name:           _ZN9rocsparse31csrmmnn_row_split_shared_kernelILj256ELj8EiiiaaiEEvNS_24const_host_device_scalarIT1_EES3_bbbT3_S4_llPKT2_PKS4_PKT4_PKT5_llPT6_ll16rocsparse_order_21rocsparse_index_base_
    .private_segment_fixed_size: 0
    .sgpr_count:     34
    .sgpr_spill_count: 0
    .symbol:         _ZN9rocsparse31csrmmnn_row_split_shared_kernelILj256ELj8EiiiaaiEEvNS_24const_host_device_scalarIT1_EES3_bbbT3_S4_llPKT2_PKS4_PKT4_PKT5_llPT6_ll16rocsparse_order_21rocsparse_index_base_.kd
    .uniform_work_group_size: 1
    .uses_dynamic_stack: false
    .vgpr_count:     30
    .vgpr_spill_count: 0
    .wavefront_size: 32
    .workgroup_processor_mode: 1
  - .args:
      - .offset:         0
        .size:           8
        .value_kind:     by_value
      - .offset:         8
        .size:           8
        .value_kind:     by_value
      - .offset:         16
        .size:           1
        .value_kind:     by_value
      - .offset:         17
        .size:           1
        .value_kind:     by_value
      - .offset:         18
        .size:           1
        .value_kind:     by_value
      - .offset:         20
        .size:           4
        .value_kind:     by_value
      - .offset:         24
        .size:           4
        .value_kind:     by_value
      - .offset:         32
        .size:           8
        .value_kind:     by_value
      - .offset:         40
        .size:           8
        .value_kind:     by_value
      - .address_space:  global
        .offset:         48
        .size:           8
        .value_kind:     global_buffer
      - .address_space:  global
        .offset:         56
        .size:           8
        .value_kind:     global_buffer
      - .address_space:  global
        .offset:         64
        .size:           8
        .value_kind:     global_buffer
      - .address_space:  global
        .offset:         72
        .size:           8
        .value_kind:     global_buffer
      - .offset:         80
        .size:           8
        .value_kind:     by_value
      - .offset:         88
        .size:           8
        .value_kind:     by_value
      - .address_space:  global
        .offset:         96
        .size:           8
        .value_kind:     global_buffer
      - .offset:         104
        .size:           8
        .value_kind:     by_value
      - .offset:         112
        .size:           8
        .value_kind:     by_value
      - .offset:         120
        .size:           4
        .value_kind:     by_value
      - .offset:         124
        .size:           4
        .value_kind:     by_value
    .group_segment_fixed_size: 2048
    .kernarg_segment_align: 8
    .kernarg_segment_size: 128
    .language:       OpenCL C
    .language_version:
      - 2
      - 0
    .max_flat_workgroup_size: 256
    .name:           _ZN9rocsparse31csrmmnn_row_split_shared_kernelILj256ELj8EiliaaiEEvNS_24const_host_device_scalarIT1_EES3_bbbT3_S4_llPKT2_PKS4_PKT4_PKT5_llPT6_ll16rocsparse_order_21rocsparse_index_base_
    .private_segment_fixed_size: 0
    .sgpr_count:     34
    .sgpr_spill_count: 0
    .symbol:         _ZN9rocsparse31csrmmnn_row_split_shared_kernelILj256ELj8EiliaaiEEvNS_24const_host_device_scalarIT1_EES3_bbbT3_S4_llPKT2_PKS4_PKT4_PKT5_llPT6_ll16rocsparse_order_21rocsparse_index_base_.kd
    .uniform_work_group_size: 1
    .uses_dynamic_stack: false
    .vgpr_count:     35
    .vgpr_spill_count: 0
    .wavefront_size: 32
    .workgroup_processor_mode: 1
  - .args:
      - .offset:         0
        .size:           8
        .value_kind:     by_value
      - .offset:         8
        .size:           8
        .value_kind:     by_value
      - .offset:         16
        .size:           1
        .value_kind:     by_value
      - .offset:         17
        .size:           1
        .value_kind:     by_value
      - .offset:         18
        .size:           1
        .value_kind:     by_value
      - .offset:         24
        .size:           8
        .value_kind:     by_value
      - .offset:         32
        .size:           8
        .value_kind:     by_value
      - .offset:         40
        .size:           8
        .value_kind:     by_value
      - .offset:         48
        .size:           8
        .value_kind:     by_value
      - .address_space:  global
        .offset:         56
        .size:           8
        .value_kind:     global_buffer
      - .address_space:  global
        .offset:         64
        .size:           8
        .value_kind:     global_buffer
      - .address_space:  global
        .offset:         72
        .size:           8
        .value_kind:     global_buffer
      - .address_space:  global
        .offset:         80
        .size:           8
        .value_kind:     global_buffer
      - .offset:         88
        .size:           8
        .value_kind:     by_value
      - .offset:         96
        .size:           8
        .value_kind:     by_value
      - .address_space:  global
        .offset:         104
        .size:           8
        .value_kind:     global_buffer
      - .offset:         112
        .size:           8
        .value_kind:     by_value
      - .offset:         120
        .size:           8
        .value_kind:     by_value
      - .offset:         128
        .size:           4
        .value_kind:     by_value
      - .offset:         132
        .size:           4
        .value_kind:     by_value
    .group_segment_fixed_size: 3072
    .kernarg_segment_align: 8
    .kernarg_segment_size: 136
    .language:       OpenCL C
    .language_version:
      - 2
      - 0
    .max_flat_workgroup_size: 256
    .name:           _ZN9rocsparse31csrmmnn_row_split_shared_kernelILj256ELj8EillaaiEEvNS_24const_host_device_scalarIT1_EES3_bbbT3_S4_llPKT2_PKS4_PKT4_PKT5_llPT6_ll16rocsparse_order_21rocsparse_index_base_
    .private_segment_fixed_size: 0
    .sgpr_count:     46
    .sgpr_spill_count: 0
    .symbol:         _ZN9rocsparse31csrmmnn_row_split_shared_kernelILj256ELj8EillaaiEEvNS_24const_host_device_scalarIT1_EES3_bbbT3_S4_llPKT2_PKS4_PKT4_PKT5_llPT6_ll16rocsparse_order_21rocsparse_index_base_.kd
    .uniform_work_group_size: 1
    .uses_dynamic_stack: false
    .vgpr_count:     41
    .vgpr_spill_count: 0
    .wavefront_size: 32
    .workgroup_processor_mode: 1
  - .args:
      - .offset:         0
        .size:           8
        .value_kind:     by_value
      - .offset:         8
        .size:           8
        .value_kind:     by_value
      - .offset:         16
        .size:           1
        .value_kind:     by_value
      - .offset:         17
        .size:           1
        .value_kind:     by_value
      - .offset:         18
        .size:           1
        .value_kind:     by_value
      - .offset:         20
        .size:           4
        .value_kind:     by_value
      - .offset:         24
        .size:           4
        .value_kind:     by_value
      - .offset:         32
        .size:           8
        .value_kind:     by_value
      - .offset:         40
        .size:           8
        .value_kind:     by_value
      - .address_space:  global
        .offset:         48
        .size:           8
        .value_kind:     global_buffer
      - .address_space:  global
        .offset:         56
        .size:           8
        .value_kind:     global_buffer
      - .address_space:  global
        .offset:         64
        .size:           8
        .value_kind:     global_buffer
      - .address_space:  global
        .offset:         72
        .size:           8
        .value_kind:     global_buffer
      - .offset:         80
        .size:           8
        .value_kind:     by_value
      - .offset:         88
        .size:           8
        .value_kind:     by_value
      - .address_space:  global
        .offset:         96
        .size:           8
        .value_kind:     global_buffer
      - .offset:         104
        .size:           8
        .value_kind:     by_value
      - .offset:         112
        .size:           8
        .value_kind:     by_value
      - .offset:         120
        .size:           4
        .value_kind:     by_value
      - .offset:         124
        .size:           4
        .value_kind:     by_value
    .group_segment_fixed_size: 2048
    .kernarg_segment_align: 8
    .kernarg_segment_size: 128
    .language:       OpenCL C
    .language_version:
      - 2
      - 0
    .max_flat_workgroup_size: 256
    .name:           _ZN9rocsparse31csrmmnn_row_split_shared_kernelILj256ELj8EfiiaafEEvNS_24const_host_device_scalarIT1_EES3_bbbT3_S4_llPKT2_PKS4_PKT4_PKT5_llPT6_ll16rocsparse_order_21rocsparse_index_base_
    .private_segment_fixed_size: 0
    .sgpr_count:     46
    .sgpr_spill_count: 0
    .symbol:         _ZN9rocsparse31csrmmnn_row_split_shared_kernelILj256ELj8EfiiaafEEvNS_24const_host_device_scalarIT1_EES3_bbbT3_S4_llPKT2_PKS4_PKT4_PKT5_llPT6_ll16rocsparse_order_21rocsparse_index_base_.kd
    .uniform_work_group_size: 1
    .uses_dynamic_stack: false
    .vgpr_count:     30
    .vgpr_spill_count: 0
    .wavefront_size: 32
    .workgroup_processor_mode: 1
  - .args:
      - .offset:         0
        .size:           8
        .value_kind:     by_value
      - .offset:         8
        .size:           8
        .value_kind:     by_value
      - .offset:         16
        .size:           1
        .value_kind:     by_value
      - .offset:         17
        .size:           1
        .value_kind:     by_value
      - .offset:         18
        .size:           1
        .value_kind:     by_value
      - .offset:         20
        .size:           4
        .value_kind:     by_value
      - .offset:         24
        .size:           4
        .value_kind:     by_value
      - .offset:         32
        .size:           8
        .value_kind:     by_value
      - .offset:         40
        .size:           8
        .value_kind:     by_value
      - .address_space:  global
        .offset:         48
        .size:           8
        .value_kind:     global_buffer
      - .address_space:  global
        .offset:         56
        .size:           8
        .value_kind:     global_buffer
      - .address_space:  global
        .offset:         64
        .size:           8
        .value_kind:     global_buffer
      - .address_space:  global
        .offset:         72
        .size:           8
        .value_kind:     global_buffer
      - .offset:         80
        .size:           8
        .value_kind:     by_value
      - .offset:         88
        .size:           8
        .value_kind:     by_value
      - .address_space:  global
        .offset:         96
        .size:           8
        .value_kind:     global_buffer
      - .offset:         104
        .size:           8
        .value_kind:     by_value
      - .offset:         112
        .size:           8
        .value_kind:     by_value
      - .offset:         120
        .size:           4
        .value_kind:     by_value
      - .offset:         124
        .size:           4
        .value_kind:     by_value
    .group_segment_fixed_size: 2048
    .kernarg_segment_align: 8
    .kernarg_segment_size: 128
    .language:       OpenCL C
    .language_version:
      - 2
      - 0
    .max_flat_workgroup_size: 256
    .name:           _ZN9rocsparse31csrmmnn_row_split_shared_kernelILj256ELj8EfliaafEEvNS_24const_host_device_scalarIT1_EES3_bbbT3_S4_llPKT2_PKS4_PKT4_PKT5_llPT6_ll16rocsparse_order_21rocsparse_index_base_
    .private_segment_fixed_size: 0
    .sgpr_count:     46
    .sgpr_spill_count: 0
    .symbol:         _ZN9rocsparse31csrmmnn_row_split_shared_kernelILj256ELj8EfliaafEEvNS_24const_host_device_scalarIT1_EES3_bbbT3_S4_llPKT2_PKS4_PKT4_PKT5_llPT6_ll16rocsparse_order_21rocsparse_index_base_.kd
    .uniform_work_group_size: 1
    .uses_dynamic_stack: false
    .vgpr_count:     35
    .vgpr_spill_count: 0
    .wavefront_size: 32
    .workgroup_processor_mode: 1
  - .args:
      - .offset:         0
        .size:           8
        .value_kind:     by_value
      - .offset:         8
        .size:           8
        .value_kind:     by_value
      - .offset:         16
        .size:           1
        .value_kind:     by_value
      - .offset:         17
        .size:           1
        .value_kind:     by_value
      - .offset:         18
        .size:           1
        .value_kind:     by_value
      - .offset:         24
        .size:           8
        .value_kind:     by_value
      - .offset:         32
        .size:           8
        .value_kind:     by_value
      - .offset:         40
        .size:           8
        .value_kind:     by_value
      - .offset:         48
        .size:           8
        .value_kind:     by_value
      - .address_space:  global
        .offset:         56
        .size:           8
        .value_kind:     global_buffer
      - .address_space:  global
        .offset:         64
        .size:           8
        .value_kind:     global_buffer
      - .address_space:  global
        .offset:         72
        .size:           8
        .value_kind:     global_buffer
      - .address_space:  global
        .offset:         80
        .size:           8
        .value_kind:     global_buffer
      - .offset:         88
        .size:           8
        .value_kind:     by_value
      - .offset:         96
        .size:           8
        .value_kind:     by_value
      - .address_space:  global
        .offset:         104
        .size:           8
        .value_kind:     global_buffer
      - .offset:         112
        .size:           8
        .value_kind:     by_value
      - .offset:         120
        .size:           8
        .value_kind:     by_value
      - .offset:         128
        .size:           4
        .value_kind:     by_value
      - .offset:         132
        .size:           4
        .value_kind:     by_value
    .group_segment_fixed_size: 3072
    .kernarg_segment_align: 8
    .kernarg_segment_size: 136
    .language:       OpenCL C
    .language_version:
      - 2
      - 0
    .max_flat_workgroup_size: 256
    .name:           _ZN9rocsparse31csrmmnn_row_split_shared_kernelILj256ELj8EfllaafEEvNS_24const_host_device_scalarIT1_EES3_bbbT3_S4_llPKT2_PKS4_PKT4_PKT5_llPT6_ll16rocsparse_order_21rocsparse_index_base_
    .private_segment_fixed_size: 0
    .sgpr_count:     50
    .sgpr_spill_count: 0
    .symbol:         _ZN9rocsparse31csrmmnn_row_split_shared_kernelILj256ELj8EfllaafEEvNS_24const_host_device_scalarIT1_EES3_bbbT3_S4_llPKT2_PKS4_PKT4_PKT5_llPT6_ll16rocsparse_order_21rocsparse_index_base_.kd
    .uniform_work_group_size: 1
    .uses_dynamic_stack: false
    .vgpr_count:     40
    .vgpr_spill_count: 0
    .wavefront_size: 32
    .workgroup_processor_mode: 1
amdhsa.target:   amdgcn-amd-amdhsa--gfx1030
amdhsa.version:
  - 1
  - 2
...

	.end_amdgpu_metadata
